;; amdgpu-corpus repo=ROCm/rocFFT kind=compiled arch=gfx1030 opt=O3
	.text
	.amdgcn_target "amdgcn-amd-amdhsa--gfx1030"
	.amdhsa_code_object_version 6
	.protected	fft_rtc_fwd_len1156_factors_17_2_17_2_wgs_204_tpt_68_halfLds_sp_ip_CI_sbrr_dirReg ; -- Begin function fft_rtc_fwd_len1156_factors_17_2_17_2_wgs_204_tpt_68_halfLds_sp_ip_CI_sbrr_dirReg
	.globl	fft_rtc_fwd_len1156_factors_17_2_17_2_wgs_204_tpt_68_halfLds_sp_ip_CI_sbrr_dirReg
	.p2align	8
	.type	fft_rtc_fwd_len1156_factors_17_2_17_2_wgs_204_tpt_68_halfLds_sp_ip_CI_sbrr_dirReg,@function
fft_rtc_fwd_len1156_factors_17_2_17_2_wgs_204_tpt_68_halfLds_sp_ip_CI_sbrr_dirReg: ; @fft_rtc_fwd_len1156_factors_17_2_17_2_wgs_204_tpt_68_halfLds_sp_ip_CI_sbrr_dirReg
; %bb.0:
	s_clause 0x1
	s_load_dwordx2 s[14:15], s[4:5], 0x18
	s_load_dwordx4 s[8:11], s[4:5], 0x0
	v_mul_u32_u24_e32 v1, 0x3c4, v0
	v_mov_b32_e32 v3, 0
	s_load_dwordx2 s[12:13], s[4:5], 0x50
	s_waitcnt lgkmcnt(0)
	s_load_dwordx2 s[2:3], s[14:15], 0x0
	v_lshrrev_b32_e32 v1, 16, v1
	v_cmp_lt_u64_e64 s0, s[10:11], 2
	v_mad_u64_u32 v[24:25], null, s6, 3, v[1:2]
	v_mov_b32_e32 v25, v3
	v_mov_b32_e32 v1, 0
	;; [unrolled: 1-line block ×3, first 2 shown]
	s_and_b32 vcc_lo, exec_lo, s0
	v_mov_b32_e32 v7, v24
	v_mov_b32_e32 v8, v25
	s_cbranch_vccnz .LBB0_8
; %bb.1:
	s_load_dwordx2 s[0:1], s[4:5], 0x10
	v_mov_b32_e32 v1, 0
	v_mov_b32_e32 v5, v24
	s_add_u32 s6, s14, 8
	v_mov_b32_e32 v2, 0
	v_mov_b32_e32 v6, v25
	s_addc_u32 s7, s15, 0
	s_mov_b64 s[18:19], 1
	s_waitcnt lgkmcnt(0)
	s_add_u32 s16, s0, 8
	s_addc_u32 s17, s1, 0
.LBB0_2:                                ; =>This Inner Loop Header: Depth=1
	s_load_dwordx2 s[20:21], s[16:17], 0x0
                                        ; implicit-def: $vgpr7_vgpr8
	s_mov_b32 s0, exec_lo
	s_waitcnt lgkmcnt(0)
	v_or_b32_e32 v4, s21, v6
	v_cmpx_ne_u64_e32 0, v[3:4]
	s_xor_b32 s1, exec_lo, s0
	s_cbranch_execz .LBB0_4
; %bb.3:                                ;   in Loop: Header=BB0_2 Depth=1
	v_cvt_f32_u32_e32 v4, s20
	v_cvt_f32_u32_e32 v7, s21
	s_sub_u32 s0, 0, s20
	s_subb_u32 s22, 0, s21
	v_fmac_f32_e32 v4, 0x4f800000, v7
	v_rcp_f32_e32 v4, v4
	v_mul_f32_e32 v4, 0x5f7ffffc, v4
	v_mul_f32_e32 v7, 0x2f800000, v4
	v_trunc_f32_e32 v7, v7
	v_fmac_f32_e32 v4, 0xcf800000, v7
	v_cvt_u32_f32_e32 v7, v7
	v_cvt_u32_f32_e32 v4, v4
	v_mul_lo_u32 v8, s0, v7
	v_mul_hi_u32 v9, s0, v4
	v_mul_lo_u32 v10, s22, v4
	v_add_nc_u32_e32 v8, v9, v8
	v_mul_lo_u32 v9, s0, v4
	v_add_nc_u32_e32 v8, v8, v10
	v_mul_hi_u32 v10, v4, v9
	v_mul_lo_u32 v11, v4, v8
	v_mul_hi_u32 v12, v4, v8
	v_mul_hi_u32 v13, v7, v9
	v_mul_lo_u32 v9, v7, v9
	v_mul_hi_u32 v14, v7, v8
	v_mul_lo_u32 v8, v7, v8
	v_add_co_u32 v10, vcc_lo, v10, v11
	v_add_co_ci_u32_e32 v11, vcc_lo, 0, v12, vcc_lo
	v_add_co_u32 v9, vcc_lo, v10, v9
	v_add_co_ci_u32_e32 v9, vcc_lo, v11, v13, vcc_lo
	v_add_co_ci_u32_e32 v10, vcc_lo, 0, v14, vcc_lo
	v_add_co_u32 v8, vcc_lo, v9, v8
	v_add_co_ci_u32_e32 v9, vcc_lo, 0, v10, vcc_lo
	v_add_co_u32 v4, vcc_lo, v4, v8
	v_add_co_ci_u32_e32 v7, vcc_lo, v7, v9, vcc_lo
	v_mul_hi_u32 v8, s0, v4
	v_mul_lo_u32 v10, s22, v4
	v_mul_lo_u32 v9, s0, v7
	v_add_nc_u32_e32 v8, v8, v9
	v_mul_lo_u32 v9, s0, v4
	v_add_nc_u32_e32 v8, v8, v10
	v_mul_hi_u32 v10, v4, v9
	v_mul_lo_u32 v11, v4, v8
	v_mul_hi_u32 v12, v4, v8
	v_mul_hi_u32 v13, v7, v9
	v_mul_lo_u32 v9, v7, v9
	v_mul_hi_u32 v14, v7, v8
	v_mul_lo_u32 v8, v7, v8
	v_add_co_u32 v10, vcc_lo, v10, v11
	v_add_co_ci_u32_e32 v11, vcc_lo, 0, v12, vcc_lo
	v_add_co_u32 v9, vcc_lo, v10, v9
	v_add_co_ci_u32_e32 v9, vcc_lo, v11, v13, vcc_lo
	v_add_co_ci_u32_e32 v10, vcc_lo, 0, v14, vcc_lo
	v_add_co_u32 v8, vcc_lo, v9, v8
	v_add_co_ci_u32_e32 v9, vcc_lo, 0, v10, vcc_lo
	v_add_co_u32 v4, vcc_lo, v4, v8
	v_add_co_ci_u32_e32 v11, vcc_lo, v7, v9, vcc_lo
	v_mul_hi_u32 v13, v5, v4
	v_mad_u64_u32 v[9:10], null, v6, v4, 0
	v_mad_u64_u32 v[7:8], null, v5, v11, 0
	v_mad_u64_u32 v[11:12], null, v6, v11, 0
	v_add_co_u32 v4, vcc_lo, v13, v7
	v_add_co_ci_u32_e32 v7, vcc_lo, 0, v8, vcc_lo
	v_add_co_u32 v4, vcc_lo, v4, v9
	v_add_co_ci_u32_e32 v4, vcc_lo, v7, v10, vcc_lo
	v_add_co_ci_u32_e32 v7, vcc_lo, 0, v12, vcc_lo
	v_add_co_u32 v4, vcc_lo, v4, v11
	v_add_co_ci_u32_e32 v9, vcc_lo, 0, v7, vcc_lo
	v_mul_lo_u32 v10, s21, v4
	v_mad_u64_u32 v[7:8], null, s20, v4, 0
	v_mul_lo_u32 v11, s20, v9
	v_sub_co_u32 v7, vcc_lo, v5, v7
	v_add3_u32 v8, v8, v11, v10
	v_sub_nc_u32_e32 v10, v6, v8
	v_subrev_co_ci_u32_e64 v10, s0, s21, v10, vcc_lo
	v_add_co_u32 v11, s0, v4, 2
	v_add_co_ci_u32_e64 v12, s0, 0, v9, s0
	v_sub_co_u32 v13, s0, v7, s20
	v_sub_co_ci_u32_e32 v8, vcc_lo, v6, v8, vcc_lo
	v_subrev_co_ci_u32_e64 v10, s0, 0, v10, s0
	v_cmp_le_u32_e32 vcc_lo, s20, v13
	v_cmp_eq_u32_e64 s0, s21, v8
	v_cndmask_b32_e64 v13, 0, -1, vcc_lo
	v_cmp_le_u32_e32 vcc_lo, s21, v10
	v_cndmask_b32_e64 v14, 0, -1, vcc_lo
	v_cmp_le_u32_e32 vcc_lo, s20, v7
	;; [unrolled: 2-line block ×3, first 2 shown]
	v_cndmask_b32_e64 v15, 0, -1, vcc_lo
	v_cmp_eq_u32_e32 vcc_lo, s21, v10
	v_cndmask_b32_e64 v7, v15, v7, s0
	v_cndmask_b32_e32 v10, v14, v13, vcc_lo
	v_add_co_u32 v13, vcc_lo, v4, 1
	v_add_co_ci_u32_e32 v14, vcc_lo, 0, v9, vcc_lo
	v_cmp_ne_u32_e32 vcc_lo, 0, v10
	v_cndmask_b32_e32 v8, v14, v12, vcc_lo
	v_cndmask_b32_e32 v10, v13, v11, vcc_lo
	v_cmp_ne_u32_e32 vcc_lo, 0, v7
	v_cndmask_b32_e32 v8, v9, v8, vcc_lo
	v_cndmask_b32_e32 v7, v4, v10, vcc_lo
.LBB0_4:                                ;   in Loop: Header=BB0_2 Depth=1
	s_andn2_saveexec_b32 s0, s1
	s_cbranch_execz .LBB0_6
; %bb.5:                                ;   in Loop: Header=BB0_2 Depth=1
	v_cvt_f32_u32_e32 v4, s20
	s_sub_i32 s1, 0, s20
	v_rcp_iflag_f32_e32 v4, v4
	v_mul_f32_e32 v4, 0x4f7ffffe, v4
	v_cvt_u32_f32_e32 v4, v4
	v_mul_lo_u32 v7, s1, v4
	v_mul_hi_u32 v7, v4, v7
	v_add_nc_u32_e32 v4, v4, v7
	v_mul_hi_u32 v4, v5, v4
	v_mul_lo_u32 v7, v4, s20
	v_add_nc_u32_e32 v8, 1, v4
	v_sub_nc_u32_e32 v7, v5, v7
	v_subrev_nc_u32_e32 v9, s20, v7
	v_cmp_le_u32_e32 vcc_lo, s20, v7
	v_cndmask_b32_e32 v7, v7, v9, vcc_lo
	v_cndmask_b32_e32 v4, v4, v8, vcc_lo
	v_cmp_le_u32_e32 vcc_lo, s20, v7
	v_add_nc_u32_e32 v8, 1, v4
	v_cndmask_b32_e32 v7, v4, v8, vcc_lo
	v_mov_b32_e32 v8, v3
.LBB0_6:                                ;   in Loop: Header=BB0_2 Depth=1
	s_or_b32 exec_lo, exec_lo, s0
	s_load_dwordx2 s[0:1], s[6:7], 0x0
	v_mul_lo_u32 v4, v8, s20
	v_mul_lo_u32 v11, v7, s21
	v_mad_u64_u32 v[9:10], null, v7, s20, 0
	s_add_u32 s18, s18, 1
	s_addc_u32 s19, s19, 0
	s_add_u32 s6, s6, 8
	s_addc_u32 s7, s7, 0
	s_add_u32 s16, s16, 8
	s_addc_u32 s17, s17, 0
	v_add3_u32 v4, v10, v11, v4
	v_sub_co_u32 v5, vcc_lo, v5, v9
	v_sub_co_ci_u32_e32 v4, vcc_lo, v6, v4, vcc_lo
	s_waitcnt lgkmcnt(0)
	v_mul_lo_u32 v6, s1, v5
	v_mul_lo_u32 v4, s0, v4
	v_mad_u64_u32 v[1:2], null, s0, v5, v[1:2]
	v_cmp_ge_u64_e64 s0, s[18:19], s[10:11]
	s_and_b32 vcc_lo, exec_lo, s0
	v_add3_u32 v2, v6, v2, v4
	s_cbranch_vccnz .LBB0_8
; %bb.7:                                ;   in Loop: Header=BB0_2 Depth=1
	v_mov_b32_e32 v5, v7
	v_mov_b32_e32 v6, v8
	s_branch .LBB0_2
.LBB0_8:
	s_lshl_b64 s[0:1], s[10:11], 3
	v_mul_hi_u32 v3, 0x3c3c3c4, v0
	s_add_u32 s0, s14, s0
	s_addc_u32 s1, s15, s1
	s_load_dwordx2 s[4:5], s[4:5], 0x20
	s_load_dwordx2 s[0:1], s[0:1], 0x0
                                        ; implicit-def: $vgpr37
                                        ; implicit-def: $vgpr38
                                        ; implicit-def: $vgpr39
                                        ; implicit-def: $vgpr40
                                        ; implicit-def: $vgpr41
                                        ; implicit-def: $vgpr43
                                        ; implicit-def: $vgpr33
                                        ; implicit-def: $vgpr34
	v_mul_u32_u24_e32 v3, 0x44, v3
	v_sub_nc_u32_e32 v32, v0, v3
	v_add_nc_u32_e32 v64, 0x44, v32
	v_add_nc_u32_e32 v68, 0x88, v32
	;; [unrolled: 1-line block ×5, first 2 shown]
	s_waitcnt lgkmcnt(0)
	v_cmp_gt_u64_e32 vcc_lo, s[4:5], v[7:8]
	v_mul_lo_u32 v3, s0, v8
	v_mul_lo_u32 v4, s1, v7
	v_mad_u64_u32 v[0:1], null, s0, v7, v[1:2]
	v_cmp_le_u64_e64 s0, s[4:5], v[7:8]
	v_add_nc_u32_e32 v62, 0x198, v32
	v_add_nc_u32_e32 v67, 0x1dc, v32
                                        ; implicit-def: $sgpr4_sgpr5
	v_add3_u32 v1, v4, v1, v3
	s_and_saveexec_b32 s1, s0
	s_xor_b32 s0, exec_lo, s1
; %bb.9:
	v_add_nc_u32_e32 v37, 0x44, v32
	v_add_nc_u32_e32 v38, 0x88, v32
	;; [unrolled: 1-line block ×8, first 2 shown]
	s_mov_b64 s[4:5], 0
; %bb.10:
	s_or_saveexec_b32 s1, s0
	v_lshlrev_b64 v[35:36], 3, v[0:1]
	v_mov_b32_e32 v15, s5
	v_mov_b32_e32 v14, s4
                                        ; implicit-def: $vgpr28
                                        ; implicit-def: $vgpr23
                                        ; implicit-def: $vgpr17
                                        ; implicit-def: $vgpr19
                                        ; implicit-def: $vgpr11
                                        ; implicit-def: $vgpr7
                                        ; implicit-def: $vgpr1
                                        ; implicit-def: $vgpr3
                                        ; implicit-def: $vgpr9
                                        ; implicit-def: $vgpr21
                                        ; implicit-def: $vgpr30
                                        ; implicit-def: $vgpr45
                                        ; implicit-def: $vgpr47
                                        ; implicit-def: $vgpr26
                                        ; implicit-def: $vgpr13
                                        ; implicit-def: $vgpr5
	s_xor_b32 exec_lo, exec_lo, s1
	s_cbranch_execz .LBB0_12
; %bb.11:
	v_mad_u64_u32 v[0:1], null, s2, v32, 0
	v_mad_u64_u32 v[2:3], null, s2, v64, 0
	;; [unrolled: 1-line block ×4, first 2 shown]
	v_add_co_u32 v33, s0, s12, v35
	v_mad_u64_u32 v[8:9], null, s3, v32, v[1:2]
	v_mov_b32_e32 v1, v5
	v_mad_u64_u32 v[9:10], null, s3, v64, v[3:4]
	v_mov_b32_e32 v5, v7
	v_add_co_ci_u32_e64 v46, s0, s13, v36, s0
	v_mad_u64_u32 v[10:11], null, s3, v68, v[1:2]
	v_mov_b32_e32 v1, v8
	v_mad_u64_u32 v[7:8], null, s3, v66, v[5:6]
	v_mov_b32_e32 v3, v9
	;; [unrolled: 2-line block ×3, first 2 shown]
	v_mad_u64_u32 v[10:11], null, s2, v63, 0
	v_lshlrev_b64 v[0:1], 3, v[0:1]
	v_lshlrev_b64 v[2:3], 3, v[2:3]
	;; [unrolled: 1-line block ×4, first 2 shown]
	v_mad_u64_u32 v[18:19], null, s2, v67, 0
	v_mad_u64_u32 v[12:13], null, s3, v65, v[9:10]
	v_add_co_u32 v0, s0, v33, v0
	v_add_co_ci_u32_e64 v1, s0, v46, v1, s0
	v_add_co_u32 v2, s0, v33, v2
	v_mad_u64_u32 v[13:14], null, s3, v63, v[11:12]
	v_add_co_ci_u32_e64 v3, s0, v46, v3, s0
	v_add_co_u32 v4, s0, v33, v4
	v_mov_b32_e32 v9, v12
	v_add_co_ci_u32_e64 v5, s0, v46, v5, s0
	v_mov_b32_e32 v11, v13
	v_mad_u64_u32 v[12:13], null, s2, v62, 0
	v_add_co_u32 v6, s0, v33, v6
	v_add_co_ci_u32_e64 v7, s0, v46, v7, s0
	s_clause 0x3
	global_load_dwordx2 v[14:15], v[0:1], off
	global_load_dwordx2 v[27:28], v[2:3], off
	;; [unrolled: 1-line block ×4, first 2 shown]
	v_lshlrev_b64 v[3:4], 3, v[10:11]
	v_mov_b32_e32 v2, v13
	v_mov_b32_e32 v5, v19
	v_add_nc_u32_e32 v34, 0x220, v32
	v_lshlrev_b64 v[0:1], 3, v[8:9]
	v_add_nc_u32_e32 v31, 0x2a8, v32
	v_mad_u64_u32 v[6:7], null, s3, v62, v[2:3]
	v_add_nc_u32_e32 v39, 0x374, v32
	v_add_nc_u32_e32 v42, 0x3b8, v32
	v_add_co_u32 v0, s0, v33, v0
	v_add_co_ci_u32_e64 v1, s0, v46, v1, s0
	v_mad_u64_u32 v[7:8], null, s3, v67, v[5:6]
	v_mad_u64_u32 v[8:9], null, s2, v34, 0
	v_mov_b32_e32 v13, v6
	v_add_co_u32 v2, s0, v33, v3
	v_add_co_ci_u32_e64 v3, s0, v46, v4, s0
	v_lshlrev_b64 v[5:6], 3, v[12:13]
	v_mov_b32_e32 v4, v9
	v_mov_b32_e32 v19, v7
	v_add_nc_u32_e32 v7, 0x264, v32
	v_mad_u64_u32 v[25:26], null, s2, v31, 0
	v_mad_u64_u32 v[11:12], null, s3, v34, v[4:5]
	;; [unrolled: 1-line block ×3, first 2 shown]
	v_lshlrev_b64 v[9:10], 3, v[18:19]
	v_add_co_u32 v4, s0, v33, v5
	v_add_co_ci_u32_e64 v5, s0, v46, v6, s0
	v_mad_u64_u32 v[37:38], null, s2, v42, 0
	v_mov_b32_e32 v6, v13
	v_add_co_u32 v20, s0, v33, v9
	v_add_co_ci_u32_e64 v21, s0, v46, v10, s0
	v_mov_b32_e32 v9, v11
	v_mad_u64_u32 v[29:30], null, s3, v7, v[6:7]
	s_clause 0x3
	global_load_dwordx2 v[18:19], v[0:1], off
	global_load_dwordx2 v[10:11], v[2:3], off
	;; [unrolled: 1-line block ×4, first 2 shown]
	v_add_nc_u32_e32 v30, 0x2ec, v32
	v_lshlrev_b64 v[2:3], 3, v[8:9]
	v_mov_b32_e32 v4, v26
	v_add_nc_u32_e32 v45, 0x3fc, v32
	v_add_nc_u32_e32 v47, 0x440, v32
	v_mad_u64_u32 v[8:9], null, s2, v30, 0
	v_mad_u64_u32 v[4:5], null, s3, v31, v[4:5]
	v_add_nc_u32_e32 v31, 0x330, v32
	v_mov_b32_e32 v13, v29
	v_add_co_u32 v2, s0, v33, v2
	v_mov_b32_e32 v5, v9
	v_mad_u64_u32 v[20:21], null, s2, v31, 0
	v_mov_b32_e32 v26, v4
	v_lshlrev_b64 v[12:13], 3, v[12:13]
	v_add_co_ci_u32_e64 v3, s0, v46, v3, s0
	v_lshlrev_b64 v[25:26], 3, v[25:26]
	v_add_co_u32 v12, s0, v33, v12
	v_add_co_ci_u32_e64 v13, s0, v46, v13, s0
	v_add_co_u32 v25, s0, v33, v25
	v_add_co_ci_u32_e64 v26, s0, v46, v26, s0
	s_waitcnt vmcnt(1)
	v_mad_u64_u32 v[4:5], null, s3, v30, v[5:6]
	v_mad_u64_u32 v[29:30], null, s2, v39, 0
	v_mov_b32_e32 v9, v4
	v_mov_b32_e32 v4, v21
	v_lshlrev_b64 v[8:9], 3, v[8:9]
	v_mad_u64_u32 v[4:5], null, s3, v31, v[4:5]
	v_mov_b32_e32 v5, v30
	v_add_co_u32 v30, s0, v33, v8
	v_mad_u64_u32 v[39:40], null, s3, v39, v[5:6]
	v_mad_u64_u32 v[40:41], null, s2, v45, 0
	v_mov_b32_e32 v21, v4
	v_mov_b32_e32 v4, v38
	v_add_co_ci_u32_e64 v31, s0, v46, v9, s0
	v_lshlrev_b64 v[20:21], 3, v[20:21]
	v_mad_u64_u32 v[42:43], null, s3, v42, v[4:5]
	v_mad_u64_u32 v[43:44], null, s2, v47, 0
	s_clause 0x3
	global_load_dwordx2 v[2:3], v[2:3], off
	global_load_dwordx2 v[4:5], v[12:13], off
	global_load_dwordx2 v[8:9], v[25:26], off
	global_load_dwordx2 v[12:13], v[30:31], off
	v_mov_b32_e32 v25, v41
	v_mov_b32_e32 v30, v39
	v_add_co_u32 v20, s0, v33, v20
	v_mov_b32_e32 v38, v42
	v_mad_u64_u32 v[25:26], null, s3, v45, v[25:26]
	v_mov_b32_e32 v26, v44
	v_lshlrev_b64 v[29:30], 3, v[29:30]
	v_add_co_ci_u32_e64 v21, s0, v46, v21, s0
	v_lshlrev_b64 v[37:38], 3, v[37:38]
	v_mad_u64_u32 v[44:45], null, s3, v47, v[26:27]
	v_mov_b32_e32 v41, v25
	v_add_co_u32 v25, s0, v33, v29
	v_add_co_ci_u32_e64 v26, s0, v46, v30, s0
	v_lshlrev_b64 v[29:30], 3, v[40:41]
	v_add_co_u32 v37, s0, v33, v37
	v_lshlrev_b64 v[39:40], 3, v[43:44]
	v_add_co_ci_u32_e64 v38, s0, v46, v38, s0
	v_add_co_u32 v41, s0, v33, v29
	v_add_co_ci_u32_e64 v42, s0, v46, v30, s0
	v_add_co_u32 v39, s0, v33, v39
	v_add_co_ci_u32_e64 v40, s0, v46, v40, s0
	s_clause 0x4
	global_load_dwordx2 v[20:21], v[20:21], off
	global_load_dwordx2 v[25:26], v[25:26], off
	;; [unrolled: 1-line block ×5, first 2 shown]
	v_mov_b32_e32 v33, v67
	v_mov_b32_e32 v43, v62
	;; [unrolled: 1-line block ×7, first 2 shown]
.LBB0_12:
	s_or_b32 exec_lo, exec_lo, s1
	v_add_f32_e32 v31, v27, v14
	s_waitcnt vmcnt(0)
	v_add_f32_e32 v53, v27, v44
	v_sub_f32_e32 v54, v28, v45
	v_add_f32_e32 v55, v22, v46
	v_sub_f32_e32 v56, v23, v47
	v_add_f32_e32 v31, v22, v31
	v_mul_f32_e32 v72, 0x3f6eb680, v53
	v_add_f32_e32 v57, v16, v29
	v_mul_f32_e32 v73, 0x3f3d2fb0, v55
	v_sub_f32_e32 v58, v17, v30
	v_add_f32_e32 v31, v16, v31
	v_fmamk_f32 v77, v54, 0x3eb8f4ab, v72
	v_add_f32_e32 v59, v18, v25
	v_mul_f32_e32 v74, 0x3ee437d1, v57
	v_fmamk_f32 v80, v56, 0x3f2c7751, v73
	v_add_f32_e32 v31, v18, v31
	v_add_f32_e32 v77, v77, v14
	v_sub_f32_e32 v60, v19, v26
	v_add_f32_e32 v61, v10, v20
	v_mul_f32_e32 v75, 0x3dbcf732, v59
	v_add_f32_e32 v42, v10, v31
	v_fmamk_f32 v83, v58, 0x3f65296c, v74
	v_add_f32_e32 v77, v80, v77
	v_sub_f32_e32 v51, v11, v21
	v_add_f32_e32 v69, v6, v12
	v_add_f32_e32 v42, v6, v42
	v_mul_f32_e32 v76, 0xbe8c1d8e, v61
	v_fmamk_f32 v85, v60, 0x3f7ee86f, v75
	v_add_f32_e32 v77, v83, v77
	v_mul_hi_u32 v52, 0xaaaaaaab, v24
	v_add_f32_e32 v79, v0, v42
	v_sub_f32_e32 v49, v7, v13
	v_add_f32_e32 v70, v0, v8
	v_mul_f32_e32 v78, 0xbf1a4643, v69
	v_fmamk_f32 v86, v51, 0x3f763a35, v76
	v_add_f32_e32 v79, v2, v79
	v_add_f32_e32 v77, v85, v77
	v_sub_f32_e32 v48, v1, v9
	v_add_f32_e32 v71, v2, v4
	v_mul_f32_e32 v50, 0xbf59a7d5, v70
	v_add_f32_e32 v79, v4, v79
	v_mul_f32_e32 v81, 0x3f3d2fb0, v53
	v_lshrrev_b32_e32 v52, 1, v52
	v_fmamk_f32 v85, v49, 0x3f4c4adb, v78
	v_add_f32_e32 v77, v86, v77
	v_add_f32_e32 v79, v8, v79
	v_sub_f32_e32 v31, v3, v5
	v_mul_f32_e32 v42, 0xbf7ba420, v71
	v_mul_f32_e32 v82, 0x3dbcf732, v55
	;; [unrolled: 1-line block ×3, first 2 shown]
	v_add_f32_e32 v79, v12, v79
	v_fmamk_f32 v87, v48, 0x3f06c442, v50
	v_fmamk_f32 v86, v54, 0x3f2c7751, v81
	v_lshl_add_u32 v52, v52, 1, v52
	v_add_f32_e32 v77, v85, v77
	v_add_f32_e32 v79, v20, v79
	v_mul_f32_e32 v84, 0xbf1a4643, v55
	v_mul_f32_e32 v83, 0xbf1a4643, v57
	v_fmamk_f32 v88, v31, 0x3e3c28d5, v42
	v_fmamk_f32 v89, v56, 0x3f7ee86f, v82
	v_add_f32_e32 v79, v25, v79
	v_fmamk_f32 v85, v54, 0x3f65296c, v80
	v_add_f32_e32 v86, v86, v14
	v_sub_nc_u32_e32 v24, v24, v52
	v_add_f32_e32 v52, v87, v77
	v_add_f32_e32 v77, v29, v79
	;; [unrolled: 1-line block ×4, first 2 shown]
	v_mul_u32_u24_e32 v24, 0x484, v24
	v_add_f32_e32 v52, v88, v52
	v_fmamk_f32 v87, v56, 0x3f4c4adb, v84
	v_fmamk_f32 v88, v58, 0x3f4c4adb, v83
	v_mul_f32_e32 v89, 0xbf7ba420, v57
	v_mul_f32_e32 v90, 0xbf7ba420, v59
	v_add_f32_e32 v86, v46, v77
	v_lshlrev_b32_e32 v77, 2, v24
	v_add_f32_e32 v24, v87, v79
	v_add_f32_e32 v79, v88, v85
	v_fmamk_f32 v85, v58, 0xbe3c28d5, v89
	v_fmamk_f32 v87, v60, 0x3e3c28d5, v90
	v_mul_f32_e32 v88, 0xbe8c1d8e, v59
	v_mul_f32_e32 v91, 0xbf59a7d5, v61
	;; [unrolled: 1-line block ×3, first 2 shown]
	v_add_f32_e32 v24, v85, v24
	v_add_f32_e32 v79, v87, v79
	v_fmamk_f32 v85, v60, 0xbf763a35, v88
	v_fmamk_f32 v87, v51, 0xbf06c442, v91
	v_add_nc_u32_e32 v94, 0, v77
	v_add_f32_e32 v86, v44, v86
	v_fmamk_f32 v95, v49, 0xbf763a35, v93
	v_add_f32_e32 v85, v85, v24
	v_add_f32_e32 v79, v87, v79
	v_mul_f32_e32 v97, 0x3ee437d1, v70
	v_mad_u32_u24 v24, 0x44, v32, v94
	v_mul_f32_e32 v99, 0xbf59a7d5, v55
	v_mul_f32_e32 v92, 0x3f3d2fb0, v61
	v_add_f32_e32 v79, v95, v79
	v_fmamk_f32 v95, v48, 0xbf65296c, v97
	ds_write2_b32 v24, v86, v52 offset1:1
	v_mul_f32_e32 v52, 0xbe8c1d8e, v53
	v_fmamk_f32 v102, v56, 0xbf06c442, v99
	v_mul_f32_e32 v104, 0x3f3d2fb0, v57
	v_add_f32_e32 v79, v95, v79
	v_fmamk_f32 v87, v51, 0xbf2c7751, v92
	v_fmamk_f32 v95, v54, 0x3f763a35, v52
	v_mul_f32_e32 v96, 0x3f6eb680, v69
	v_mul_f32_e32 v107, 0x3ee437d1, v59
	;; [unrolled: 1-line block ×3, first 2 shown]
	v_add_f32_e32 v85, v87, v85
	v_add_f32_e32 v95, v95, v14
	v_fmamk_f32 v87, v49, 0x3eb8f4ab, v96
	v_mul_f32_e32 v108, 0xbf7ba420, v61
	v_mul_f32_e32 v98, 0x3dbcf732, v53
	v_fmamk_f32 v105, v48, 0x3f7ee86f, v100
	v_add_f32_e32 v95, v102, v95
	v_fmamk_f32 v102, v58, 0xbf2c7751, v104
	v_add_f32_e32 v85, v87, v85
	v_mul_f32_e32 v109, 0x3f6eb680, v71
	v_mul_f32_e32 v111, 0x3dbcf732, v69
	;; [unrolled: 1-line block ×3, first 2 shown]
	v_add_f32_e32 v95, v102, v95
	v_fmamk_f32 v102, v60, 0x3f65296c, v107
	v_fmamk_f32 v86, v54, 0x3f7ee86f, v98
	v_mul_f32_e32 v87, 0xbf7ba420, v55
	v_add_f32_e32 v85, v105, v85
	v_fmamk_f32 v112, v31, 0xbeb8f4ab, v109
	v_add_f32_e32 v95, v102, v95
	v_fmamk_f32 v102, v51, 0x3e3c28d5, v108
	v_mul_f32_e32 v114, 0x3f6eb680, v70
	v_fmamk_f32 v118, v31, 0x3f06c442, v115
	v_add_f32_e32 v86, v86, v14
	v_fmamk_f32 v101, v56, 0x3e3c28d5, v87
	v_add_f32_e32 v95, v102, v95
	v_fmamk_f32 v102, v49, 0xbf7ee86f, v111
	v_mul_f32_e32 v103, 0xbe8c1d8e, v57
	v_mul_f32_e32 v117, 0xbf1a4643, v71
	v_add_f32_e32 v79, v112, v79
	v_add_f32_e32 v85, v118, v85
	;; [unrolled: 1-line block ×3, first 2 shown]
	v_fmamk_f32 v102, v48, 0x3eb8f4ab, v114
	v_mul_f32_e32 v112, 0xbf1a4643, v53
	v_add_f32_e32 v86, v101, v86
	v_fmamk_f32 v101, v58, 0xbf763a35, v103
	v_mul_f32_e32 v106, 0x3f6eb680, v59
	v_add_f32_e32 v95, v102, v95
	v_fmamk_f32 v102, v31, 0x3f4c4adb, v117
	ds_write2_b32 v24, v79, v85 offset0:2 offset1:3
	v_fmamk_f32 v79, v54, 0x3f4c4adb, v112
	v_mul_f32_e32 v85, 0xbe8c1d8e, v55
	v_add_f32_e32 v86, v101, v86
	v_fmamk_f32 v101, v60, 0xbeb8f4ab, v106
	v_mul_f32_e32 v105, 0x3ee437d1, v61
	v_add_f32_e32 v95, v102, v95
	v_add_f32_e32 v79, v79, v14
	v_fmamk_f32 v102, v56, 0xbf763a35, v85
	v_mul_f32_e32 v118, 0x3f6eb680, v57
	v_add_f32_e32 v86, v101, v86
	v_fmamk_f32 v101, v51, 0x3f65296c, v105
	v_mul_f32_e32 v110, 0xbf59a7d5, v69
	;; [unrolled: 3-line block ×9, first 2 shown]
	v_add_f32_e32 v86, v101, v86
	v_mul_f32_e32 v101, 0xbf59a7d5, v53
	v_mul_f32_e32 v53, 0xbf7ba420, v53
	v_add_f32_e32 v79, v102, v79
	v_fmamk_f32 v102, v48, 0x3e3c28d5, v127
	ds_write2_b32 v24, v86, v95 offset0:4 offset1:5
	v_mul_f32_e32 v95, 0x3ee437d1, v55
	v_mul_f32_e32 v55, 0x3f6eb680, v55
	;; [unrolled: 1-line block ×3, first 2 shown]
	v_add_f32_e32 v79, v102, v79
	v_fmamk_f32 v102, v54, 0x3e3c28d5, v53
	v_fmac_f32_e32 v53, 0xbe3c28d5, v54
	v_fmamk_f32 v130, v56, 0xbeb8f4ab, v55
	v_fmac_f32_e32 v55, 0x3eb8f4ab, v56
	v_fmamk_f32 v86, v54, 0x3f06c442, v101
	v_add_f32_e32 v102, v102, v14
	v_add_f32_e32 v53, v53, v14
	v_mul_f32_e32 v122, 0xbf1a4643, v59
	v_mul_f32_e32 v59, 0x3f3d2fb0, v59
	v_fmac_f32_e32 v112, 0xbf4c4adb, v54
	v_add_f32_e32 v102, v130, v102
	v_fmamk_f32 v130, v58, 0x3f06c442, v57
	v_add_f32_e32 v53, v55, v53
	v_fmac_f32_e32 v57, 0xbf06c442, v58
	v_fmac_f32_e32 v101, 0xbf06c442, v54
	v_add_f32_e32 v86, v86, v14
	v_fmamk_f32 v119, v56, 0xbf65296c, v95
	v_mul_f32_e32 v124, 0x3f6eb680, v61
	v_add_f32_e32 v55, v130, v102
	v_fmamk_f32 v102, v60, 0xbf2c7751, v59
	v_add_f32_e32 v53, v57, v53
	v_fmac_f32_e32 v59, 0x3f2c7751, v60
	v_mul_f32_e32 v57, 0xbf1a4643, v61
	v_add_f32_e32 v61, v112, v14
	v_fmac_f32_e32 v85, 0x3f763a35, v56
	v_add_f32_e32 v101, v101, v14
	v_fmac_f32_e32 v95, 0x3f65296c, v56
	v_add_f32_e32 v86, v119, v86
	v_fmamk_f32 v119, v58, 0x3f7ee86f, v120
	v_add_f32_e32 v55, v102, v55
	v_add_f32_e32 v53, v59, v53
	v_fmamk_f32 v59, v51, 0x3f4c4adb, v57
	v_fmac_f32_e32 v57, 0xbf4c4adb, v51
	v_add_f32_e32 v61, v85, v61
	v_add_f32_e32 v85, v95, v101
	v_fmac_f32_e32 v118, 0xbeb8f4ab, v58
	v_fmac_f32_e32 v120, 0xbf7ee86f, v58
	v_add_f32_e32 v86, v119, v86
	v_fmamk_f32 v119, v60, 0xbf4c4adb, v122
	v_add_f32_e32 v55, v59, v55
	v_add_f32_e32 v53, v57, v53
	v_mul_f32_e32 v57, 0x3ee437d1, v69
	v_add_f32_e32 v59, v118, v61
	v_add_f32_e32 v61, v120, v85
	v_fmac_f32_e32 v121, 0xbf06c442, v60
	v_fmac_f32_e32 v122, 0x3f4c4adb, v60
	v_add_f32_e32 v86, v119, v86
	v_fmamk_f32 v119, v51, 0x3eb8f4ab, v124
	v_mul_f32_e32 v126, 0xbf7ba420, v69
	v_mul_f32_e32 v128, 0x3f3d2fb0, v70
	v_fmamk_f32 v69, v49, 0xbf65296c, v57
	v_fmac_f32_e32 v57, 0x3f65296c, v49
	v_mul_f32_e32 v70, 0xbe8c1d8e, v70
	v_add_f32_e32 v59, v121, v59
	v_add_f32_e32 v61, v122, v61
	v_fmac_f32_e32 v123, 0x3f7ee86f, v51
	v_fmac_f32_e32 v124, 0xbeb8f4ab, v51
	v_add_f32_e32 v86, v119, v86
	v_fmamk_f32 v119, v49, 0x3e3c28d5, v126
	v_add_f32_e32 v55, v69, v55
	v_add_f32_e32 v53, v57, v53
	v_fmamk_f32 v57, v48, 0x3f763a35, v70
	v_add_f32_e32 v59, v123, v59
	v_add_f32_e32 v61, v124, v61
	v_fmac_f32_e32 v125, 0xbf2c7751, v49
	v_fmac_f32_e32 v126, 0xbe3c28d5, v49
	v_add_f32_e32 v86, v119, v86
	v_fmamk_f32 v119, v48, 0xbf2c7751, v128
	v_mul_f32_e32 v129, 0x3ee437d1, v71
	v_mul_f32_e32 v131, 0xbe8c1d8e, v71
	v_add_f32_e32 v55, v57, v55
	v_fmac_f32_e32 v70, 0xbf763a35, v48
	v_mul_f32_e32 v57, 0x3dbcf732, v71
	v_add_f32_e32 v59, v125, v59
	v_add_f32_e32 v61, v126, v61
	v_fmac_f32_e32 v127, 0xbe3c28d5, v48
	v_fmac_f32_e32 v128, 0x3f2c7751, v48
	v_add_f32_e32 v86, v119, v86
	v_fmamk_f32 v119, v31, 0xbf65296c, v129
	v_fmamk_f32 v132, v31, 0x3f763a35, v131
	v_add_f32_e32 v53, v70, v53
	v_fmamk_f32 v69, v31, 0xbf7ee86f, v57
	v_fmac_f32_e32 v57, 0x3f7ee86f, v31
	v_add_f32_e32 v59, v127, v59
	v_add_f32_e32 v61, v128, v61
	v_fmac_f32_e32 v129, 0x3f65296c, v31
	v_fmac_f32_e32 v131, 0xbf763a35, v31
	;; [unrolled: 1-line block ×7, first 2 shown]
	v_add_f32_e32 v55, v69, v55
	v_add_f32_e32 v53, v57, v53
	;; [unrolled: 1-line block ×5, first 2 shown]
	v_fmac_f32_e32 v73, 0xbf2c7751, v56
	v_add_f32_e32 v61, v81, v14
	v_fmac_f32_e32 v82, 0xbf7ee86f, v56
	v_add_f32_e32 v69, v80, v14
	;; [unrolled: 2-line block ×3, first 2 shown]
	v_fmac_f32_e32 v87, 0xbe3c28d5, v56
	v_fmac_f32_e32 v99, 0x3f06c442, v56
	v_add_f32_e32 v14, v52, v14
	v_add_f32_e32 v52, v73, v54
	v_add_f32_e32 v54, v82, v61
	v_add_f32_e32 v56, v84, v69
	v_add_f32_e32 v61, v87, v70
	v_add_f32_e32 v14, v99, v14
	v_fmac_f32_e32 v74, 0xbf65296c, v58
	v_fmac_f32_e32 v83, 0xbf4c4adb, v58
	v_fmac_f32_e32 v89, 0x3e3c28d5, v58
	v_fmac_f32_e32 v103, 0x3f763a35, v58
	v_fmac_f32_e32 v104, 0x3f2c7751, v58
	v_add_f32_e32 v52, v74, v52
	v_add_f32_e32 v54, v83, v54
	v_add_f32_e32 v56, v89, v56
	v_add_f32_e32 v58, v103, v61
	v_add_f32_e32 v14, v104, v14
	v_fmac_f32_e32 v75, 0xbf7ee86f, v60
	v_fmac_f32_e32 v90, 0xbe3c28d5, v60
	v_fmac_f32_e32 v88, 0x3f763a35, v60
	v_fmac_f32_e32 v106, 0x3eb8f4ab, v60
	v_fmac_f32_e32 v107, 0xbf65296c, v60
	v_add_f32_e32 v52, v75, v52
	v_add_f32_e32 v54, v90, v54
	v_add_f32_e32 v56, v88, v56
	v_add_f32_e32 v58, v106, v58
	v_add_f32_e32 v14, v107, v14
	v_fmac_f32_e32 v76, 0xbf763a35, v51
	v_fmac_f32_e32 v91, 0x3f06c442, v51
	v_fmac_f32_e32 v92, 0x3f2c7751, v51
	v_fmac_f32_e32 v105, 0xbf65296c, v51
	v_fmac_f32_e32 v108, 0xbe3c28d5, v51
	v_add_f32_e32 v51, v76, v52
	v_add_f32_e32 v52, v91, v54
	v_add_f32_e32 v54, v92, v56
	v_add_f32_e32 v56, v105, v58
	v_add_f32_e32 v14, v108, v14
	v_fmac_f32_e32 v78, 0xbf4c4adb, v49
	v_fmac_f32_e32 v93, 0x3f763a35, v49
	v_fmac_f32_e32 v96, 0xbeb8f4ab, v49
	v_fmac_f32_e32 v110, 0xbf06c442, v49
	v_fmac_f32_e32 v111, 0x3f7ee86f, v49
	v_add_f32_e32 v49, v78, v51
	v_add_f32_e32 v51, v93, v52
	v_add_f32_e32 v52, v96, v54
	v_add_f32_e32 v54, v110, v56
	v_add_f32_e32 v14, v111, v14
	v_fmac_f32_e32 v50, 0xbf06c442, v48
	v_fmac_f32_e32 v97, 0x3f65296c, v48
	;; [unrolled: 1-line block ×5, first 2 shown]
	v_add_f32_e32 v48, v50, v49
	v_add_f32_e32 v49, v97, v51
	;; [unrolled: 1-line block ×4, first 2 shown]
	v_fmac_f32_e32 v109, 0x3eb8f4ab, v31
	v_fmac_f32_e32 v116, 0x3f2c7751, v31
	;; [unrolled: 1-line block ×3, first 2 shown]
	v_add_f32_e32 v50, v100, v52
	v_fmac_f32_e32 v115, 0xbf06c442, v31
	v_add_f32_e32 v79, v119, v79
	v_add_f32_e32 v86, v132, v86
	v_fmac_f32_e32 v42, 0xbe3c28d5, v31
	v_add_f32_e32 v31, v109, v49
	v_add_f32_e32 v49, v116, v51
	;; [unrolled: 1-line block ×4, first 2 shown]
	ds_write2_b32 v24, v79, v86 offset0:6 offset1:7
	ds_write2_b32 v24, v55, v53 offset0:8 offset1:9
	;; [unrolled: 1-line block ×5, first 2 shown]
	v_lshlrev_b32_e32 v14, 2, v32
	v_add_f32_e32 v56, v42, v48
	v_lshl_add_u32 v70, v37, 2, v94
	v_lshl_add_u32 v71, v38, 2, v94
	;; [unrolled: 1-line block ×3, first 2 shown]
	v_add_nc_u32_e32 v69, v94, v14
	v_add3_u32 v42, 0, v14, v77
	v_lshl_add_u32 v73, v40, 2, v94
	ds_write_b32 v24, v56 offset:64
	s_waitcnt lgkmcnt(0)
	s_barrier
	buffer_gl0_inv
	v_lshl_add_u32 v74, v41, 2, v94
	v_lshl_add_u32 v75, v43, 2, v94
	;; [unrolled: 1-line block ×3, first 2 shown]
	v_add_nc_u32_e32 v84, 0x800, v42
	v_add_nc_u32_e32 v83, 0xa00, v42
	;; [unrolled: 1-line block ×4, first 2 shown]
	ds_read_b32 v58, v69
	ds_read_b32 v59, v70
	;; [unrolled: 1-line block ×8, first 2 shown]
	ds_read2_b32 v[54:55], v84 offset0:66 offset1:134
	ds_read2_b32 v[52:53], v83 offset0:74 offset1:142
	;; [unrolled: 1-line block ×4, first 2 shown]
	v_cmp_gt_u32_e64 s0, 34, v32
	v_lshlrev_b32_e32 v31, 2, v34
                                        ; implicit-def: $vgpr57
	s_and_saveexec_b32 s1, s0
	s_cbranch_execz .LBB0_14
; %bb.13:
	v_add3_u32 v56, 0, v31, v77
	ds_read_b32 v56, v56
	ds_read_b32 v57, v42 offset:4488
.LBB0_14:
	s_or_b32 exec_lo, exec_lo, s1
	v_add_f32_e32 v85, v28, v15
	v_sub_f32_e32 v27, v27, v44
	v_add_f32_e32 v44, v23, v47
	v_add_f32_e32 v28, v28, v45
	v_sub_f32_e32 v22, v22, v46
	v_add_f32_e32 v23, v23, v85
	v_mul_f32_e32 v46, 0xbeb8f4ab, v27
	v_mul_f32_e32 v85, 0xbf2c7751, v27
	;; [unrolled: 1-line block ×4, first 2 shown]
	v_add_f32_e32 v23, v17, v23
	v_mul_f32_e32 v88, 0xbf763a35, v27
	v_mul_f32_e32 v89, 0xbf4c4adb, v27
	;; [unrolled: 1-line block ×4, first 2 shown]
	v_add_f32_e32 v23, v19, v23
	v_mul_f32_e32 v91, 0xbf2c7751, v22
	v_mul_f32_e32 v92, 0xbf7ee86f, v22
	v_fmamk_f32 v96, v28, 0x3f6eb680, v46
	v_fma_f32 v46, 0x3f6eb680, v28, -v46
	v_add_f32_e32 v23, v11, v23
	v_fmamk_f32 v97, v28, 0x3f3d2fb0, v85
	v_fma_f32 v85, 0x3f3d2fb0, v28, -v85
	v_mul_f32_e32 v94, 0xbe3c28d5, v22
	v_mul_f32_e32 v95, 0x3f06c442, v22
	v_add_f32_e32 v23, v7, v23
	v_fmamk_f32 v98, v28, 0x3ee437d1, v86
	v_fma_f32 v86, 0x3ee437d1, v28, -v86
	v_fmamk_f32 v99, v28, 0x3dbcf732, v87
	v_fma_f32 v87, 0x3dbcf732, v28, -v87
	v_add_f32_e32 v23, v1, v23
	v_fmamk_f32 v100, v28, 0xbe8c1d8e, v88
	v_fma_f32 v88, 0xbe8c1d8e, v28, -v88
	v_fmamk_f32 v101, v28, 0xbf1a4643, v89
	v_fma_f32 v89, 0xbf1a4643, v28, -v89
	;; [unrolled: 5-line block ×4, first 2 shown]
	v_add_f32_e32 v23, v9, v23
	v_add_f32_e32 v96, v96, v15
	;; [unrolled: 1-line block ×23, first 2 shown]
	v_fma_f32 v91, 0xbf7ba420, v44, -v94
	v_mul_f32_e32 v93, 0xbf4c4adb, v22
	v_add_f32_e32 v23, v47, v23
	v_add_f32_e32 v47, v92, v85
	v_mul_f32_e32 v92, 0x3f763a35, v22
	v_add_f32_e32 v87, v91, v87
	v_sub_f32_e32 v16, v16, v29
	v_add_f32_e32 v23, v45, v23
	v_fmamk_f32 v45, v44, 0xbf7ba420, v94
	v_fma_f32 v94, 0xbf59a7d5, v44, -v95
	v_fmamk_f32 v91, v44, 0xbe8c1d8e, v92
	v_fma_f32 v92, 0xbe8c1d8e, v44, -v92
	;; [unrolled: 2-line block ×3, first 2 shown]
	v_add_f32_e32 v88, v94, v88
	v_mul_f32_e32 v94, 0x3f65296c, v22
	v_mul_f32_e32 v22, 0x3eb8f4ab, v22
	v_add_f32_e32 v89, v92, v89
	v_add_f32_e32 v17, v17, v30
	v_mul_f32_e32 v30, 0xbf65296c, v16
	v_fmamk_f32 v29, v44, 0x3ee437d1, v94
	v_fma_f32 v92, 0x3ee437d1, v44, -v94
	v_fmamk_f32 v94, v44, 0x3f6eb680, v22
	v_fma_f32 v22, 0x3f6eb680, v44, -v22
	v_add_f32_e32 v86, v93, v86
	v_fmamk_f32 v93, v44, 0xbf59a7d5, v95
	v_add_f32_e32 v44, v92, v90
	v_add_f32_e32 v90, v94, v103
	v_fmamk_f32 v92, v17, 0x3ee437d1, v30
	v_mul_f32_e32 v94, 0xbf4c4adb, v16
	v_add_f32_e32 v15, v22, v15
	v_fma_f32 v22, 0x3ee437d1, v17, -v30
	v_mul_f32_e32 v30, 0x3e3c28d5, v16
	v_add_f32_e32 v27, v92, v27
	v_fmamk_f32 v92, v17, 0xbf1a4643, v94
	v_fma_f32 v94, 0xbf1a4643, v17, -v94
	v_add_f32_e32 v22, v22, v28
	v_fmamk_f32 v28, v17, 0xbf7ba420, v30
	v_mul_f32_e32 v95, 0x3f763a35, v16
	v_fma_f32 v30, 0xbf7ba420, v17, -v30
	v_add_f32_e32 v46, v104, v97
	v_add_f32_e32 v85, v105, v98
	;; [unrolled: 1-line block ×3, first 2 shown]
	v_fma_f32 v94, 0xbe8c1d8e, v17, -v95
	v_add_f32_e32 v30, v30, v86
	v_mul_f32_e32 v86, 0xbeb8f4ab, v16
	v_add_f32_e32 v45, v45, v99
	v_add_f32_e32 v46, v92, v46
	;; [unrolled: 1-line block ×3, first 2 shown]
	v_fmamk_f32 v85, v17, 0xbe8c1d8e, v95
	v_mul_f32_e32 v92, 0x3f2c7751, v16
	v_add_f32_e32 v87, v94, v87
	v_fmamk_f32 v94, v17, 0x3f6eb680, v86
	v_mul_f32_e32 v95, 0xbf7ee86f, v16
	v_fma_f32 v86, 0x3f6eb680, v17, -v86
	v_mul_f32_e32 v16, 0xbf06c442, v16
	v_sub_f32_e32 v18, v18, v25
	v_add_f32_e32 v45, v85, v45
	v_fmamk_f32 v85, v17, 0x3f3d2fb0, v92
	v_fma_f32 v92, 0x3f3d2fb0, v17, -v92
	v_add_f32_e32 v86, v86, v89
	v_fma_f32 v25, 0x3dbcf732, v17, -v95
	v_fmamk_f32 v89, v17, 0xbf59a7d5, v16
	v_add_f32_e32 v19, v19, v26
	v_mul_f32_e32 v26, 0xbf7ee86f, v18
	v_fma_f32 v16, 0xbf59a7d5, v17, -v16
	v_add_f32_e32 v88, v92, v88
	v_fmamk_f32 v92, v17, 0x3dbcf732, v95
	v_add_f32_e32 v25, v25, v44
	v_add_f32_e32 v17, v89, v90
	v_mul_f32_e32 v44, 0xbe3c28d5, v18
	v_fmamk_f32 v89, v19, 0x3dbcf732, v26
	v_fma_f32 v26, 0x3dbcf732, v19, -v26
	v_add_f32_e32 v15, v16, v15
	v_mul_f32_e32 v16, 0x3f763a35, v18
	v_fmamk_f32 v90, v19, 0xbf7ba420, v44
	v_add_f32_e32 v27, v89, v27
	v_add_f32_e32 v22, v26, v22
	v_fma_f32 v26, 0xbf7ba420, v19, -v44
	v_fmamk_f32 v44, v19, 0xbe8c1d8e, v16
	v_mul_f32_e32 v89, 0x3eb8f4ab, v18
	v_fma_f32 v16, 0xbe8c1d8e, v19, -v16
	v_add_f32_e32 v46, v90, v46
	v_add_f32_e32 v26, v26, v47
	;; [unrolled: 1-line block ×3, first 2 shown]
	v_mul_f32_e32 v44, 0xbf65296c, v18
	v_fmamk_f32 v47, v19, 0x3f6eb680, v89
	v_add_f32_e32 v16, v16, v30
	v_fma_f32 v30, 0x3f6eb680, v19, -v89
	v_mul_f32_e32 v89, 0xbf06c442, v18
	v_fmamk_f32 v90, v19, 0x3ee437d1, v44
	v_fma_f32 v44, 0x3ee437d1, v19, -v44
	v_add_f32_e32 v29, v29, v102
	v_add_f32_e32 v30, v30, v87
	v_fma_f32 v87, 0xbf59a7d5, v19, -v89
	v_sub_f32_e32 v10, v10, v20
	v_add_f32_e32 v44, v44, v88
	v_mul_f32_e32 v88, 0x3f4c4adb, v18
	v_mul_f32_e32 v18, 0x3f2c7751, v18
	v_add_f32_e32 v29, v92, v29
	v_add_f32_e32 v86, v87, v86
	;; [unrolled: 1-line block ×3, first 2 shown]
	v_fmamk_f32 v20, v19, 0xbf1a4643, v88
	v_fma_f32 v87, 0xbf1a4643, v19, -v88
	v_fmamk_f32 v88, v19, 0x3f3d2fb0, v18
	v_mul_f32_e32 v21, 0xbf763a35, v10
	v_fma_f32 v18, 0x3f3d2fb0, v19, -v18
	v_add_f32_e32 v45, v47, v45
	v_fmamk_f32 v47, v19, 0xbf59a7d5, v89
	v_add_f32_e32 v20, v20, v29
	v_add_f32_e32 v19, v87, v25
	v_fmamk_f32 v25, v11, 0xbe8c1d8e, v21
	v_mul_f32_e32 v29, 0x3f06c442, v10
	v_add_f32_e32 v15, v18, v15
	v_fma_f32 v18, 0xbe8c1d8e, v11, -v21
	v_mul_f32_e32 v21, 0x3f2c7751, v10
	v_add_f32_e32 v91, v91, v101
	v_add_f32_e32 v25, v25, v27
	v_fmamk_f32 v27, v11, 0xbf59a7d5, v29
	v_fma_f32 v29, 0xbf59a7d5, v11, -v29
	v_add_f32_e32 v18, v18, v22
	v_fmamk_f32 v22, v11, 0x3f3d2fb0, v21
	v_mul_f32_e32 v87, 0xbf65296c, v10
	v_fma_f32 v21, 0x3f3d2fb0, v11, -v21
	v_add_f32_e32 v91, v94, v91
	v_add_f32_e32 v27, v27, v46
	;; [unrolled: 1-line block ×4, first 2 shown]
	v_fmamk_f32 v28, v11, 0x3ee437d1, v87
	v_mul_f32_e32 v29, 0xbe3c28d5, v10
	v_fma_f32 v46, 0x3ee437d1, v11, -v87
	v_add_f32_e32 v16, v21, v16
	v_mul_f32_e32 v21, 0x3f7ee86f, v10
	v_add_f32_e32 v47, v47, v91
	v_add_f32_e32 v28, v28, v45
	v_fmamk_f32 v45, v11, 0xbf7ba420, v29
	v_add_f32_e32 v30, v46, v30
	v_fma_f32 v29, 0xbf7ba420, v11, -v29
	v_fmamk_f32 v46, v11, 0x3dbcf732, v21
	v_mul_f32_e32 v87, 0xbeb8f4ab, v10
	v_mul_f32_e32 v10, 0xbf4c4adb, v10
	v_sub_f32_e32 v6, v6, v12
	v_add_f32_e32 v29, v29, v44
	v_add_f32_e32 v44, v46, v47
	v_fmamk_f32 v46, v11, 0x3f6eb680, v87
	v_add_f32_e32 v17, v88, v17
	v_fma_f32 v12, 0x3f6eb680, v11, -v87
	v_add_f32_e32 v7, v7, v13
	v_mul_f32_e32 v13, 0xbf4c4adb, v6
	v_add_f32_e32 v20, v46, v20
	v_fmamk_f32 v46, v11, 0xbf1a4643, v10
	v_fma_f32 v10, 0xbf1a4643, v11, -v10
	v_fma_f32 v21, 0x3dbcf732, v11, -v21
	v_add_f32_e32 v12, v12, v19
	v_fmamk_f32 v19, v7, 0xbf1a4643, v13
	v_add_f32_e32 v11, v46, v17
	v_mul_f32_e32 v17, 0x3f763a35, v6
	v_fma_f32 v13, 0xbf1a4643, v7, -v13
	v_add_f32_e32 v10, v10, v15
	v_mul_f32_e32 v15, 0xbeb8f4ab, v6
	v_add_f32_e32 v19, v19, v25
	v_fmamk_f32 v46, v7, 0xbe8c1d8e, v17
	v_add_f32_e32 v13, v13, v18
	v_fma_f32 v17, 0xbe8c1d8e, v7, -v17
	v_fmamk_f32 v18, v7, 0x3f6eb680, v15
	v_fma_f32 v15, 0x3f6eb680, v7, -v15
	v_add_f32_e32 v25, v46, v27
	v_mul_f32_e32 v27, 0xbf06c442, v6
	v_add_f32_e32 v17, v17, v26
	v_add_f32_e32 v18, v18, v22
	v_mul_f32_e32 v22, 0x3f7ee86f, v6
	v_add_f32_e32 v15, v15, v16
	v_fmamk_f32 v26, v7, 0xbf59a7d5, v27
	v_fma_f32 v16, 0xbf59a7d5, v7, -v27
	v_mul_f32_e32 v27, 0xbf2c7751, v6
	v_fmamk_f32 v46, v7, 0x3dbcf732, v22
	v_fma_f32 v22, 0x3dbcf732, v7, -v22
	v_add_f32_e32 v21, v21, v86
	v_add_f32_e32 v26, v26, v28
	v_fmamk_f32 v28, v7, 0x3f3d2fb0, v27
	v_fma_f32 v27, 0x3f3d2fb0, v7, -v27
	v_add_f32_e32 v22, v22, v29
	v_mul_f32_e32 v29, 0xbe3c28d5, v6
	v_mul_f32_e32 v6, 0x3f65296c, v6
	v_sub_f32_e32 v0, v0, v8
	v_add_f32_e32 v21, v27, v21
	v_add_f32_e32 v1, v1, v9
	v_fmamk_f32 v8, v7, 0xbf7ba420, v29
	v_fma_f32 v27, 0xbf7ba420, v7, -v29
	v_fmamk_f32 v29, v7, 0x3ee437d1, v6
	v_mul_f32_e32 v9, 0xbf06c442, v0
	v_fma_f32 v6, 0x3ee437d1, v7, -v6
	v_add_f32_e32 v8, v8, v20
	v_add_f32_e32 v7, v27, v12
	v_mul_f32_e32 v20, 0x3f65296c, v0
	v_fmamk_f32 v12, v1, 0xbf59a7d5, v9
	v_add_f32_e32 v6, v6, v10
	v_fma_f32 v9, 0xbf59a7d5, v1, -v9
	v_mul_f32_e32 v10, 0xbf7ee86f, v0
	v_add_f32_e32 v93, v93, v100
	v_add_f32_e32 v12, v12, v19
	v_fmamk_f32 v19, v1, 0x3ee437d1, v20
	v_add_f32_e32 v9, v9, v13
	v_fmamk_f32 v13, v1, 0x3dbcf732, v10
	v_mul_f32_e32 v27, 0x3f4c4adb, v0
	v_fma_f32 v10, 0x3dbcf732, v1, -v10
	v_add_f32_e32 v85, v85, v93
	v_add_f32_e32 v16, v16, v30
	v_fma_f32 v20, 0x3ee437d1, v1, -v20
	v_add_f32_e32 v19, v19, v25
	v_fma_f32 v25, 0xbf1a4643, v1, -v27
	v_add_f32_e32 v10, v10, v15
	v_mul_f32_e32 v15, 0xbe3c28d5, v0
	v_add_f32_e32 v85, v90, v85
	v_add_f32_e32 v17, v20, v17
	;; [unrolled: 1-line block ×3, first 2 shown]
	v_fmamk_f32 v18, v1, 0xbf1a4643, v27
	v_mul_f32_e32 v20, 0xbeb8f4ab, v0
	v_add_f32_e32 v16, v25, v16
	v_fmamk_f32 v25, v1, 0xbf7ba420, v15
	v_mul_f32_e32 v27, 0x3f2c7751, v0
	v_fma_f32 v15, 0xbf7ba420, v1, -v15
	v_mul_f32_e32 v0, 0xbf763a35, v0
	v_sub_f32_e32 v2, v2, v4
	v_add_f32_e32 v45, v45, v85
	v_add_f32_e32 v28, v28, v44
	;; [unrolled: 1-line block ×4, first 2 shown]
	v_fmamk_f32 v26, v1, 0x3f6eb680, v20
	v_fma_f32 v20, 0x3f6eb680, v1, -v20
	v_add_f32_e32 v15, v15, v21
	v_fma_f32 v4, 0x3f3d2fb0, v1, -v27
	v_fmamk_f32 v21, v1, 0xbe8c1d8e, v0
	v_add_f32_e32 v3, v3, v5
	v_mul_f32_e32 v5, 0xbe3c28d5, v2
	v_fma_f32 v0, 0xbe8c1d8e, v1, -v0
	v_add_f32_e32 v30, v46, v45
	v_add_f32_e32 v20, v20, v22
	;; [unrolled: 1-line block ×3, first 2 shown]
	v_fmamk_f32 v25, v1, 0x3f3d2fb0, v27
	v_add_f32_e32 v4, v4, v7
	v_add_f32_e32 v1, v21, v11
	v_mul_f32_e32 v7, 0x3eb8f4ab, v2
	v_fmamk_f32 v11, v3, 0xbf7ba420, v5
	v_fma_f32 v5, 0xbf7ba420, v3, -v5
	v_add_f32_e32 v0, v0, v6
	v_mul_f32_e32 v6, 0xbf06c442, v2
	v_add_f32_e32 v29, v26, v30
	v_fmamk_f32 v21, v3, 0x3f6eb680, v7
	v_add_f32_e32 v26, v5, v9
	v_fma_f32 v5, 0x3f6eb680, v3, -v7
	v_fmamk_f32 v7, v3, 0xbf59a7d5, v6
	v_add_f32_e32 v11, v11, v12
	v_mul_f32_e32 v12, 0x3f2c7751, v2
	v_add_f32_e32 v9, v21, v19
	v_fma_f32 v6, 0xbf59a7d5, v3, -v6
	v_add_f32_e32 v7, v7, v13
	v_mul_f32_e32 v13, 0xbf4c4adb, v2
	v_add_f32_e32 v5, v5, v17
	v_fmamk_f32 v17, v3, 0x3f3d2fb0, v12
	v_add_f32_e32 v6, v6, v10
	v_fma_f32 v10, 0x3f3d2fb0, v3, -v12
	v_fmamk_f32 v19, v3, 0xbf1a4643, v13
	v_mul_f32_e32 v12, 0x3f65296c, v2
	v_add_f32_e32 v17, v17, v18
	v_fma_f32 v13, 0xbf1a4643, v3, -v13
	v_add_f32_e32 v8, v25, v8
	v_add_f32_e32 v18, v19, v29
	v_mul_f32_e32 v19, 0xbf763a35, v2
	v_mul_f32_e32 v2, 0x3f7ee86f, v2
	v_add_f32_e32 v10, v10, v16
	v_fmamk_f32 v16, v3, 0x3ee437d1, v12
	v_add_f32_e32 v13, v13, v20
	v_fmamk_f32 v20, v3, 0xbe8c1d8e, v19
	v_fma_f32 v12, 0x3ee437d1, v3, -v12
	v_fma_f32 v19, 0xbe8c1d8e, v3, -v19
	v_fmamk_f32 v21, v3, 0x3dbcf732, v2
	v_fma_f32 v2, 0x3dbcf732, v3, -v2
	v_add_f32_e32 v16, v16, v22
	v_add_f32_e32 v8, v20, v8
	;; [unrolled: 1-line block ×6, first 2 shown]
	s_waitcnt lgkmcnt(0)
	s_barrier
	buffer_gl0_inv
	ds_write2_b32 v24, v23, v11 offset1:1
	ds_write2_b32 v24, v9, v7 offset0:2 offset1:3
	ds_write2_b32 v24, v17, v18 offset0:4 offset1:5
	;; [unrolled: 1-line block ×7, first 2 shown]
	ds_write_b32 v24, v26 offset:64
	s_waitcnt lgkmcnt(0)
	s_barrier
	buffer_gl0_inv
	ds_read2_b32 v[6:7], v84 offset0:66 offset1:134
	ds_read2_b32 v[2:3], v83 offset0:74 offset1:142
	;; [unrolled: 1-line block ×4, first 2 shown]
	ds_read_b32 v44, v69
	ds_read_b32 v46, v70
	;; [unrolled: 1-line block ×8, first 2 shown]
                                        ; implicit-def: $vgpr82
	s_and_saveexec_b32 s1, s0
	s_cbranch_execz .LBB0_16
; %bb.15:
	v_add3_u32 v8, 0, v31, v77
	ds_read_b32 v26, v8
	ds_read_b32 v82, v42 offset:4488
.LBB0_16:
	s_or_b32 exec_lo, exec_lo, s1
	v_and_b32_e32 v8, 0xff, v32
	v_mov_b32_e32 v16, 0xf0f1
	v_and_b32_e32 v9, 0xff, v37
	v_and_b32_e32 v10, 0xff, v38
	v_mov_b32_e32 v17, 3
	v_mul_lo_u16 v8, 0xf1, v8
	v_mul_u32_u24_sdwa v11, v39, v16 dst_sel:DWORD dst_unused:UNUSED_PAD src0_sel:WORD_0 src1_sel:DWORD
	v_mul_u32_u24_sdwa v18, v40, v16 dst_sel:DWORD dst_unused:UNUSED_PAD src0_sel:WORD_0 src1_sel:DWORD
	;; [unrolled: 1-line block ×6, first 2 shown]
	v_mul_lo_u16 v9, 0xf1, v9
	v_mul_lo_u16 v10, 0xf1, v10
	v_lshrrev_b16 v84, 12, v8
	v_lshrrev_b32_e32 v92, 20, v18
	v_lshrrev_b32_e32 v96, 20, v16
	v_lshrrev_b16 v85, 12, v9
	v_lshrrev_b32_e32 v93, 20, v19
	v_lshrrev_b16 v86, 12, v10
	v_lshrrev_b32_e32 v94, 20, v20
	v_lshrrev_b32_e32 v87, 20, v11
	;; [unrolled: 1-line block ×3, first 2 shown]
	v_mul_lo_u16 v8, v84, 17
	v_mul_lo_u16 v16, v92, 17
	;; [unrolled: 1-line block ×9, first 2 shown]
	v_sub_nc_u16 v88, v32, v8
	v_sub_nc_u16 v97, v40, v16
	;; [unrolled: 1-line block ×9, first 2 shown]
	v_lshlrev_b32_sdwa v8, v17, v88 dst_sel:DWORD dst_unused:UNUSED_PAD src0_sel:DWORD src1_sel:BYTE_0
	v_lshlrev_b32_sdwa v18, v17, v97 dst_sel:DWORD dst_unused:UNUSED_PAD src0_sel:DWORD src1_sel:WORD_0
	v_and_b32_e32 v103, 0xffff, v16
	v_lshlrev_b32_sdwa v9, v17, v89 dst_sel:DWORD dst_unused:UNUSED_PAD src0_sel:DWORD src1_sel:BYTE_0
	v_lshlrev_b32_sdwa v19, v17, v98 dst_sel:DWORD dst_unused:UNUSED_PAD src0_sel:DWORD src1_sel:WORD_0
	v_lshlrev_b32_sdwa v10, v17, v90 dst_sel:DWORD dst_unused:UNUSED_PAD src0_sel:DWORD src1_sel:BYTE_0
	v_lshlrev_b32_sdwa v20, v17, v99 dst_sel:DWORD dst_unused:UNUSED_PAD src0_sel:DWORD src1_sel:WORD_0
	v_lshlrev_b32_sdwa v11, v17, v91 dst_sel:DWORD dst_unused:UNUSED_PAD src0_sel:DWORD src1_sel:WORD_0
	;; [unrolled: 1-line block ×3, first 2 shown]
	s_clause 0x7
	global_load_dwordx2 v[12:13], v8, s[8:9]
	global_load_dwordx2 v[14:15], v9, s[8:9]
	;; [unrolled: 1-line block ×8, first 2 shown]
	v_lshlrev_b32_e32 v18, 3, v103
	v_mov_b32_e32 v83, 2
	v_and_b32_e32 v85, 0xffff, v85
	v_and_b32_e32 v86, 0xffff, v86
	;; [unrolled: 1-line block ×3, first 2 shown]
	global_load_dwordx2 v[18:19], v18, s[8:9]
	v_lshlrev_b32_sdwa v89, v83, v89 dst_sel:DWORD dst_unused:UNUSED_PAD src0_sel:DWORD src1_sel:BYTE_0
	v_mad_u32_u24 v85, 0x88, v85, 0
	v_mad_u32_u24 v86, 0x88, v86, 0
	v_lshlrev_b32_sdwa v90, v83, v90 dst_sel:DWORD dst_unused:UNUSED_PAD src0_sel:DWORD src1_sel:BYTE_0
	v_mad_u32_u24 v87, 0x88, v87, 0
	v_lshlrev_b32_sdwa v91, v83, v91 dst_sel:DWORD dst_unused:UNUSED_PAD src0_sel:DWORD src1_sel:WORD_0
	v_mad_u32_u24 v102, 0x88, v95, 0
	v_mad_u32_u24 v95, 0x88, v101, 0
	v_lshlrev_b32_sdwa v88, v83, v88 dst_sel:DWORD dst_unused:UNUSED_PAD src0_sel:DWORD src1_sel:BYTE_0
	v_mad_u32_u24 v92, 0x88, v92, 0
	v_mad_u32_u24 v93, 0x88, v93, 0
	v_mul_lo_u16 v84, v96, 34
	v_lshlrev_b32_sdwa v101, v83, v97 dst_sel:DWORD dst_unused:UNUSED_PAD src0_sel:DWORD src1_sel:WORD_0
	v_lshlrev_b32_sdwa v104, v83, v98 dst_sel:DWORD dst_unused:UNUSED_PAD src0_sel:DWORD src1_sel:WORD_0
	v_add3_u32 v96, v85, v89, v77
	v_add3_u32 v97, v86, v90, v77
	;; [unrolled: 1-line block ×4, first 2 shown]
	v_lshlrev_b32_sdwa v105, v83, v99 dst_sel:DWORD dst_unused:UNUSED_PAD src0_sel:DWORD src1_sel:WORD_0
	v_lshlrev_b32_sdwa v106, v83, v100 dst_sel:DWORD dst_unused:UNUSED_PAD src0_sel:DWORD src1_sel:WORD_0
	v_add3_u32 v99, v92, v101, v77
	v_add3_u32 v100, v93, v104, v77
	v_mad_u32_u24 v94, 0x88, v94, 0
	s_waitcnt vmcnt(0) lgkmcnt(0)
	v_add3_u32 v102, v102, v106, v77
	s_barrier
	buffer_gl0_inv
	v_add3_u32 v101, v94, v105, v77
	v_lshl_add_u32 v94, v103, 2, 0
	v_mul_f32_e32 v85, v6, v13
	v_mul_f32_e32 v89, v4, v23
	;; [unrolled: 1-line block ×8, first 2 shown]
	v_fma_f32 v85, v54, v12, -v85
	v_fma_f32 v89, v50, v22, -v89
	v_mul_f32_e32 v93, v82, v19
	v_fma_f32 v86, v55, v14, -v86
	v_fma_f32 v87, v52, v8, -v87
	v_fma_f32 v88, v53, v10, -v88
	v_fma_f32 v90, v51, v24, -v90
	v_fma_f32 v91, v48, v20, -v91
	v_fma_f32 v92, v49, v16, -v92
	v_fma_f32 v93, v57, v18, -v93
	v_sub_f32_e32 v85, v58, v85
	v_sub_f32_e32 v89, v78, v89
	;; [unrolled: 1-line block ×8, first 2 shown]
	v_fma_f32 v58, v58, 2.0, -v85
	v_fma_f32 v103, v78, 2.0, -v89
	v_sub_f32_e32 v78, v56, v93
	v_fma_f32 v59, v59, 2.0, -v86
	v_fma_f32 v60, v60, 2.0, -v87
	;; [unrolled: 1-line block ×6, first 2 shown]
	ds_write2_b32 v95, v58, v85 offset1:17
	ds_write2_b32 v96, v59, v86 offset1:17
	;; [unrolled: 1-line block ×8, first 2 shown]
	s_and_saveexec_b32 s1, s0
	s_cbranch_execz .LBB0_18
; %bb.17:
	v_lshlrev_b32_sdwa v58, v83, v84 dst_sel:DWORD dst_unused:UNUSED_PAD src0_sel:DWORD src1_sel:WORD_0
	v_fma_f32 v56, v56, 2.0, -v78
	v_add3_u32 v58, v94, v58, v77
	ds_write2_b32 v58, v56, v78 offset1:17
.LBB0_18:
	s_or_b32 exec_lo, exec_lo, s1
	v_mul_f32_e32 v13, v54, v13
	v_mul_f32_e32 v15, v55, v15
	;; [unrolled: 1-line block ×4, first 2 shown]
	v_add_nc_u32_e32 v83, 0x800, v42
	v_fmac_f32_e32 v13, v6, v12
	v_mul_f32_e32 v12, v48, v21
	v_fmac_f32_e32 v15, v7, v14
	v_mul_f32_e32 v6, v50, v23
	v_mul_f32_e32 v7, v51, v25
	v_fmac_f32_e32 v9, v2, v8
	v_fmac_f32_e32 v11, v3, v10
	;; [unrolled: 1-line block ×3, first 2 shown]
	v_mul_f32_e32 v0, v49, v17
	v_sub_f32_e32 v3, v44, v13
	v_mul_f32_e32 v2, v57, v19
	v_fmac_f32_e32 v6, v4, v22
	v_fmac_f32_e32 v7, v5, v24
	v_sub_f32_e32 v4, v46, v15
	v_sub_f32_e32 v5, v47, v9
	v_fmac_f32_e32 v0, v1, v16
	v_fma_f32 v1, v44, 2.0, -v3
	v_add3_u32 v44, 0, v31, v77
	v_fmac_f32_e32 v2, v82, v18
	s_waitcnt lgkmcnt(0)
	s_barrier
	buffer_gl0_inv
	ds_read_b32 v85, v69
	ds_read_b32 v92, v70
	;; [unrolled: 1-line block ×8, first 2 shown]
	v_add_nc_u32_e32 v82, 0xa00, v42
	v_add_nc_u32_e32 v81, 0xc00, v42
	;; [unrolled: 1-line block ×3, first 2 shown]
	v_fma_f32 v8, v46, 2.0, -v4
	v_fma_f32 v9, v47, 2.0, -v5
	ds_read_b32 v93, v44
	ds_read2_b32 v[52:53], v83 offset0:100 offset1:168
	ds_read2_b32 v[50:51], v82 offset0:108 offset1:176
	;; [unrolled: 1-line block ×4, first 2 shown]
	v_sub_f32_e32 v10, v27, v11
	v_sub_f32_e32 v6, v28, v6
	;; [unrolled: 1-line block ×6, first 2 shown]
	v_fma_f32 v12, v27, 2.0, -v10
	v_fma_f32 v13, v28, 2.0, -v6
	;; [unrolled: 1-line block ×5, first 2 shown]
	s_waitcnt lgkmcnt(0)
	s_barrier
	buffer_gl0_inv
	ds_write2_b32 v95, v1, v3 offset1:17
	ds_write2_b32 v96, v8, v4 offset1:17
	;; [unrolled: 1-line block ×8, first 2 shown]
	s_and_saveexec_b32 s1, s0
	s_cbranch_execz .LBB0_20
; %bb.19:
	v_mov_b32_e32 v0, 2
	v_fma_f32 v1, v26, 2.0, -v79
	v_lshlrev_b32_sdwa v0, v0, v84 dst_sel:DWORD dst_unused:UNUSED_PAD src0_sel:DWORD src1_sel:WORD_0
	v_add3_u32 v0, v94, v0, v77
	ds_write2_b32 v0, v1, v79 offset1:17
.LBB0_20:
	s_or_b32 exec_lo, exec_lo, s1
	v_subrev_nc_u32_e32 v45, 34, v32
	v_mov_b32_e32 v1, 0
	s_waitcnt lgkmcnt(0)
	s_barrier
	buffer_gl0_inv
	v_cndmask_b32_e64 v84, v45, v32, s0
	v_lshlrev_b32_e32 v0, 4, v84
	v_lshlrev_b64 v[0:1], 3, v[0:1]
	v_add_co_u32 v20, s1, s8, v0
	v_add_co_ci_u32_e64 v21, s1, s9, v1, s1
	v_cmp_lt_u32_e64 s1, 33, v32
	s_clause 0x7
	global_load_dwordx4 v[12:15], v[20:21], off offset:136
	global_load_dwordx4 v[8:11], v[20:21], off offset:152
	global_load_dwordx4 v[4:7], v[20:21], off offset:168
	global_load_dwordx4 v[0:3], v[20:21], off offset:184
	global_load_dwordx4 v[28:31], v[20:21], off offset:200
	global_load_dwordx4 v[24:27], v[20:21], off offset:216
	global_load_dwordx4 v[16:19], v[20:21], off offset:232
	global_load_dwordx4 v[20:23], v[20:21], off offset:248
	ds_read_b32 v103, v70
	ds_read_b32 v102, v71
	;; [unrolled: 1-line block ×8, first 2 shown]
	ds_read2_b32 v[60:61], v83 offset0:100 offset1:168
	ds_read2_b32 v[58:59], v82 offset0:108 offset1:176
	;; [unrolled: 1-line block ×4, first 2 shown]
	ds_read_b32 v108, v69
	s_waitcnt vmcnt(0) lgkmcnt(0)
	s_barrier
	buffer_gl0_inv
	v_mul_f32_e32 v113, v103, v13
	v_mul_f32_e32 v112, v92, v13
	;; [unrolled: 1-line block ×32, first 2 shown]
	v_fma_f32 v92, v92, v12, -v113
	v_fmac_f32_e32 v112, v103, v12
	v_fmac_f32_e32 v111, v102, v14
	;; [unrolled: 1-line block ×14, first 2 shown]
	v_fma_f32 v91, v91, v14, -v114
	v_fma_f32 v90, v90, v8, -v115
	v_fma_f32 v89, v89, v10, -v116
	v_fma_f32 v31, v88, v4, -v117
	v_fma_f32 v27, v87, v6, -v5
	v_fma_f32 v12, v86, v0, -v7
	v_fma_f32 v8, v93, v2, -v1
	v_fma_f32 v10, v52, v28, -v3
	v_fmac_f32_e32 v11, v60, v28
	v_fma_f32 v14, v53, v30, -v118
	v_fma_f32 v28, v50, v24, -v119
	;; [unrolled: 1-line block ×7, first 2 shown]
	v_sub_f32_e32 v1, v112, v109
	v_sub_f32_e32 v3, v111, v110
	;; [unrolled: 1-line block ×7, first 2 shown]
	v_add_f32_e32 v22, v85, v92
	v_fmac_f32_e32 v9, v96, v2
	v_add_f32_e32 v0, v92, v50
	v_add_f32_e32 v2, v91, v49
	;; [unrolled: 1-line block ×7, first 2 shown]
	v_mul_f32_e32 v46, 0xbeb8f4ab, v1
	v_mul_f32_e32 v47, 0xbf2c7751, v1
	;; [unrolled: 1-line block ×56, first 2 shown]
	v_add_f32_e32 v22, v22, v91
	v_fma_f32 v143, 0x3f6eb680, v0, -v46
	v_fmac_f32_e32 v46, 0x3f6eb680, v0
	v_fma_f32 v144, 0x3f3d2fb0, v0, -v47
	v_fmac_f32_e32 v47, 0x3f3d2fb0, v0
	;; [unrolled: 2-line block ×56, first 2 shown]
	v_add_f32_e32 v21, v22, v90
	v_add_f32_e32 v1, v85, v1
	;; [unrolled: 1-line block ×51, first 2 shown]
	v_sub_f32_e32 v23, v9, v11
	v_add_f32_e32 v55, v86, v55
	v_add_f32_e32 v85, v157, v150
	;; [unrolled: 1-line block ×18, first 2 shown]
	v_mul_f32_e32 v137, 0xbe3c28d5, v23
	v_add_f32_e32 v55, v99, v55
	v_add_f32_e32 v60, v164, v85
	v_add_f32_e32 v54, v114, v54
	v_add_f32_e32 v57, v170, v59
	v_add_f32_e32 v2, v116, v2
	v_add_f32_e32 v4, v172, v4
	v_add_f32_e32 v5, v117, v5
	v_add_f32_e32 v6, v173, v21
	v_add_f32_e32 v7, v118, v46
	v_add_f32_e32 v21, v174, v47
	v_add_f32_e32 v46, v119, v51
	v_add_f32_e32 v47, v175, v52
	v_add_f32_e32 v51, v120, v53
	v_add_f32_e32 v52, v176, v56
	v_add_f32_e32 v1, v17, v1
	v_add_f32_e32 v0, v16, v0
	v_add_f32_e32 v3, v3, v30
	v_mul_f32_e32 v138, 0x3eb8f4ab, v23
	v_mul_f32_e32 v139, 0xbf06c442, v23
	;; [unrolled: 1-line block ×5, first 2 shown]
	v_fma_f32 v22, 0xbf7ba420, v24, -v137
	v_add_f32_e32 v55, v115, v55
	v_add_f32_e32 v58, v171, v60
	;; [unrolled: 1-line block ×17, first 2 shown]
	v_fmac_f32_e32 v137, 0xbf7ba420, v24
	v_fma_f32 v193, 0x3f6eb680, v24, -v138
	v_fmac_f32_e32 v138, 0x3f6eb680, v24
	v_fma_f32 v194, 0xbf59a7d5, v24, -v139
	;; [unrolled: 2-line block ×3, first 2 shown]
	v_fma_f32 v196, 0xbf1a4643, v24, -v141
	v_fmac_f32_e32 v141, 0xbf1a4643, v24
	v_fma_f32 v197, 0x3ee437d1, v24, -v142
	v_add_f32_e32 v55, v122, v55
	v_add_f32_e32 v56, v178, v58
	v_add_f32_e32 v51, v128, v53
	v_add_f32_e32 v52, v184, v54
	v_add_f32_e32 v2, v130, v2
	v_add_f32_e32 v4, v186, v4
	v_add_f32_e32 v5, v131, v5
	v_add_f32_e32 v6, v187, v6
	v_add_f32_e32 v7, v132, v7
	v_add_f32_e32 v18, v188, v16
	v_add_f32_e32 v19, v189, v21
	v_add_f32_e32 v21, v134, v46
	v_add_f32_e32 v46, v190, v47
	v_add_f32_e32 v1, v20, v1
	v_add_f32_e32 v0, v22, v0
	v_mul_f32_e32 v20, 0xbf763a35, v23
	v_mul_f32_e32 v22, 0x3f7ee86f, v23
	v_cndmask_b32_e64 v23, 0, 0x908, s1
	v_add_f32_e32 v3, v3, v48
	v_add_f32_e32 v53, v129, v55
	;; [unrolled: 1-line block ×13, first 2 shown]
	v_fmac_f32_e32 v142, 0x3ee437d1, v24
	v_add_f32_e32 v21, v197, v46
	v_fma_f32 v46, 0xbe8c1d8e, v24, -v20
	v_add_nc_u32_e32 v23, 0, v23
	v_lshlrev_b32_e32 v55, 2, v84
	v_add_f32_e32 v3, v3, v49
	v_fmac_f32_e32 v140, 0x3f3d2fb0, v24
	v_add_f32_e32 v17, v133, v17
	v_add_f32_e32 v52, v136, v53
	;; [unrolled: 1-line block ×4, first 2 shown]
	v_fmac_f32_e32 v20, 0xbe8c1d8e, v24
	v_fma_f32 v47, 0x3dbcf732, v24, -v22
	v_fmac_f32_e32 v22, 0x3dbcf732, v24
	v_add_f32_e32 v24, v46, v51
	v_add3_u32 v46, v23, v55, v77
	v_add_f32_e32 v3, v3, v50
	v_add_f32_e32 v17, v140, v17
	v_add_f32_e32 v20, v20, v52
	v_add_f32_e32 v51, v47, v53
	v_add_f32_e32 v1, v22, v1
	v_add_nc_u32_e32 v47, 0x400, v46
	ds_write2_b32 v46, v3, v0 offset1:34
	ds_write2_b32 v46, v2, v5 offset0:68 offset1:102
	ds_write2_b32 v46, v7, v18 offset0:136 offset1:170
	;; [unrolled: 1-line block ×7, first 2 shown]
	ds_write_b32 v46, v16 offset:2176
	s_waitcnt lgkmcnt(0)
	s_barrier
	buffer_gl0_inv
	ds_read2_b32 v[0:1], v83 offset0:66 offset1:134
	ds_read2_b32 v[2:3], v82 offset0:74 offset1:142
	;; [unrolled: 1-line block ×4, first 2 shown]
	ds_read_b32 v19, v69
	ds_read_b32 v18, v70
	;; [unrolled: 1-line block ×8, first 2 shown]
	s_and_saveexec_b32 s1, s0
	s_cbranch_execz .LBB0_22
; %bb.21:
	ds_read_b32 v16, v44
	ds_read_b32 v78, v42 offset:4488
.LBB0_22:
	s_or_b32 exec_lo, exec_lo, s1
	v_sub_f32_e32 v50, v92, v50
	v_add_f32_e32 v52, v112, v109
	v_sub_f32_e32 v49, v91, v49
	v_add_f32_e32 v53, v111, v110
	v_sub_f32_e32 v48, v90, v48
	v_mul_f32_e32 v54, 0xbeb8f4ab, v50
	v_mul_f32_e32 v55, 0xbf2c7751, v50
	;; [unrolled: 1-line block ×11, first 2 shown]
	v_fmamk_f32 v83, v52, 0x3f6eb680, v54
	v_fma_f32 v54, 0x3f6eb680, v52, -v54
	v_fmamk_f32 v84, v52, 0x3f3d2fb0, v55
	v_fmamk_f32 v85, v52, 0x3ee437d1, v56
	v_fma_f32 v56, 0x3ee437d1, v52, -v56
	v_mul_f32_e32 v81, 0xbe3c28d5, v49
	v_mul_f32_e32 v82, 0x3f06c442, v49
	v_fma_f32 v55, 0x3f3d2fb0, v52, -v55
	v_fmamk_f32 v86, v52, 0x3dbcf732, v57
	v_fma_f32 v57, 0x3dbcf732, v52, -v57
	v_fmamk_f32 v87, v52, 0xbe8c1d8e, v58
	;; [unrolled: 2-line block ×7, first 2 shown]
	v_fmamk_f32 v96, v53, 0xbf1a4643, v80
	v_fma_f32 v80, 0xbf1a4643, v53, -v80
	v_add_f32_e32 v83, v108, v83
	v_add_f32_e32 v54, v108, v54
	;; [unrolled: 1-line block ×9, first 2 shown]
	v_fmamk_f32 v83, v53, 0xbf7ba420, v81
	v_add_f32_e32 v56, v80, v56
	v_fma_f32 v80, 0xbf7ba420, v53, -v81
	v_mul_f32_e32 v81, 0x3f763a35, v49
	v_fmamk_f32 v84, v53, 0xbf59a7d5, v82
	v_fma_f32 v82, 0xbf59a7d5, v53, -v82
	v_fma_f32 v77, 0x3dbcf732, v53, -v77
	v_add_f32_e32 v55, v108, v55
	v_add_f32_e32 v85, v108, v85
	;; [unrolled: 1-line block ×6, first 2 shown]
	v_fmamk_f32 v80, v53, 0xbe8c1d8e, v81
	v_fma_f32 v81, 0xbe8c1d8e, v53, -v81
	v_add_f32_e32 v58, v82, v58
	v_mul_f32_e32 v82, 0x3f65296c, v49
	v_mul_f32_e32 v49, 0x3eb8f4ab, v49
	v_add_f32_e32 v60, v108, v60
	v_add_f32_e32 v92, v108, v92
	;; [unrolled: 1-line block ×7, first 2 shown]
	v_fmamk_f32 v81, v53, 0x3ee437d1, v82
	v_fma_f32 v82, 0x3ee437d1, v53, -v82
	v_fmamk_f32 v85, v53, 0x3f6eb680, v49
	v_add_f32_e32 v86, v106, v107
	v_mul_f32_e32 v87, 0xbf65296c, v48
	v_add_f32_e32 v51, v108, v112
	v_add_f32_e32 v50, v108, v50
	v_fma_f32 v49, 0x3f6eb680, v53, -v49
	v_add_f32_e32 v53, v82, v60
	v_add_f32_e32 v60, v85, v92
	v_fmamk_f32 v82, v86, 0x3ee437d1, v87
	v_mul_f32_e32 v85, 0xbf4c4adb, v48
	v_add_f32_e32 v51, v51, v111
	v_add_f32_e32 v88, v108, v88
	;; [unrolled: 1-line block ×3, first 2 shown]
	v_fma_f32 v50, 0x3ee437d1, v86, -v87
	v_mul_f32_e32 v87, 0x3e3c28d5, v48
	v_add_f32_e32 v52, v82, v52
	v_fmamk_f32 v82, v86, 0xbf1a4643, v85
	v_add_f32_e32 v51, v51, v106
	v_add_f32_e32 v80, v80, v88
	v_fma_f32 v85, 0xbf1a4643, v86, -v85
	v_add_f32_e32 v50, v50, v54
	v_fmamk_f32 v54, v86, 0xbf7ba420, v87
	v_mul_f32_e32 v88, 0x3f763a35, v48
	v_add_f32_e32 v61, v82, v61
	v_fma_f32 v82, 0xbf7ba420, v86, -v87
	v_add_f32_e32 v51, v51, v104
	v_add_f32_e32 v55, v85, v55
	;; [unrolled: 1-line block ×3, first 2 shown]
	v_fmamk_f32 v77, v86, 0xbe8c1d8e, v88
	v_mul_f32_e32 v85, 0x3f2c7751, v48
	v_fma_f32 v87, 0xbe8c1d8e, v86, -v88
	v_add_f32_e32 v56, v82, v56
	v_mul_f32_e32 v82, 0xbeb8f4ab, v48
	v_add_f32_e32 v51, v51, v95
	v_add_f32_e32 v91, v108, v91
	;; [unrolled: 1-line block ×3, first 2 shown]
	v_fmamk_f32 v83, v86, 0x3f3d2fb0, v85
	v_add_f32_e32 v57, v87, v57
	v_fmamk_f32 v87, v86, 0x3f6eb680, v82
	v_mul_f32_e32 v88, 0xbf7ee86f, v48
	v_fma_f32 v82, 0x3f6eb680, v86, -v82
	v_add_f32_e32 v51, v51, v94
	v_add_f32_e32 v81, v81, v91
	v_fma_f32 v85, 0x3f3d2fb0, v86, -v85
	v_add_f32_e32 v83, v83, v84
	v_fmamk_f32 v84, v86, 0x3dbcf732, v88
	v_mul_f32_e32 v48, 0xbf06c442, v48
	v_add_f32_e32 v59, v82, v59
	v_sub_f32_e32 v26, v89, v26
	v_fma_f32 v82, 0x3dbcf732, v86, -v88
	v_add_f32_e32 v51, v51, v13
	v_add_f32_e32 v58, v85, v58
	;; [unrolled: 1-line block ×4, first 2 shown]
	v_fmamk_f32 v84, v86, 0xbf59a7d5, v48
	v_add_f32_e32 v85, v104, v105
	v_mul_f32_e32 v87, 0xbf7ee86f, v26
	v_add_f32_e32 v53, v82, v53
	v_fma_f32 v48, 0xbf59a7d5, v86, -v48
	v_mul_f32_e32 v82, 0xbe3c28d5, v26
	v_add_f32_e32 v51, v51, v9
	v_add_f32_e32 v60, v84, v60
	v_fmamk_f32 v84, v85, 0x3dbcf732, v87
	v_fma_f32 v86, 0x3dbcf732, v85, -v87
	v_add_f32_e32 v48, v48, v49
	v_mul_f32_e32 v49, 0x3f763a35, v26
	v_fmamk_f32 v87, v85, 0xbf7ba420, v82
	v_fma_f32 v82, 0xbf7ba420, v85, -v82
	v_add_f32_e32 v51, v51, v11
	v_add_f32_e32 v52, v84, v52
	;; [unrolled: 1-line block ×3, first 2 shown]
	v_fmamk_f32 v84, v85, 0xbe8c1d8e, v49
	v_mul_f32_e32 v86, 0x3eb8f4ab, v26
	v_fma_f32 v49, 0xbe8c1d8e, v85, -v49
	v_add_f32_e32 v55, v82, v55
	v_mul_f32_e32 v82, 0xbf65296c, v26
	v_add_f32_e32 v51, v51, v15
	v_add_f32_e32 v61, v87, v61
	v_add_f32_e32 v54, v84, v54
	v_fmamk_f32 v84, v85, 0x3f6eb680, v86
	v_add_f32_e32 v49, v49, v56
	v_fma_f32 v56, 0x3f6eb680, v85, -v86
	v_mul_f32_e32 v86, 0xbf06c442, v26
	v_fmamk_f32 v87, v85, 0x3ee437d1, v82
	v_fma_f32 v82, 0x3ee437d1, v85, -v82
	v_add_f32_e32 v51, v51, v25
	v_add_f32_e32 v77, v84, v77
	;; [unrolled: 1-line block ×3, first 2 shown]
	v_fmamk_f32 v57, v85, 0xbf59a7d5, v86
	v_fma_f32 v84, 0xbf59a7d5, v85, -v86
	v_add_f32_e32 v58, v82, v58
	v_mul_f32_e32 v82, 0x3f4c4adb, v26
	v_mul_f32_e32 v26, 0x3f2c7751, v26
	v_sub_f32_e32 v30, v31, v30
	v_add_f32_e32 v51, v51, v29
	v_add_f32_e32 v57, v57, v80
	;; [unrolled: 1-line block ×3, first 2 shown]
	v_fmamk_f32 v31, v85, 0xbf1a4643, v82
	v_fma_f32 v80, 0xbf1a4643, v85, -v82
	v_fmamk_f32 v82, v85, 0x3f3d2fb0, v26
	v_add_f32_e32 v29, v95, v29
	v_mul_f32_e32 v84, 0xbf763a35, v30
	v_fma_f32 v26, 0x3f3d2fb0, v85, -v26
	v_add_f32_e32 v31, v31, v81
	v_add_f32_e32 v53, v80, v53
	;; [unrolled: 1-line block ×3, first 2 shown]
	v_fmamk_f32 v80, v29, 0xbe8c1d8e, v84
	v_mul_f32_e32 v81, 0x3f06c442, v30
	v_add_f32_e32 v26, v26, v48
	v_fma_f32 v48, 0xbe8c1d8e, v29, -v84
	v_mul_f32_e32 v82, 0x3f2c7751, v30
	v_add_f32_e32 v52, v80, v52
	v_fmamk_f32 v80, v29, 0xbf59a7d5, v81
	v_fma_f32 v81, 0xbf59a7d5, v29, -v81
	v_add_f32_e32 v48, v48, v50
	v_fmamk_f32 v50, v29, 0x3f3d2fb0, v82
	v_mul_f32_e32 v84, 0xbf65296c, v30
	v_add_f32_e32 v61, v80, v61
	v_add_f32_e32 v55, v81, v55
	v_fma_f32 v80, 0x3f3d2fb0, v29, -v82
	v_add_f32_e32 v50, v50, v54
	v_fmamk_f32 v54, v29, 0x3ee437d1, v84
	v_mul_f32_e32 v81, 0xbe3c28d5, v30
	v_fma_f32 v82, 0x3ee437d1, v29, -v84
	v_add_f32_e32 v49, v80, v49
	v_mul_f32_e32 v80, 0x3f7ee86f, v30
	v_add_f32_e32 v54, v54, v77
	v_fmamk_f32 v77, v29, 0xbf7ba420, v81
	v_fma_f32 v81, 0xbf7ba420, v29, -v81
	v_mul_f32_e32 v84, 0xbeb8f4ab, v30
	v_add_f32_e32 v56, v82, v56
	v_fmamk_f32 v82, v29, 0x3dbcf732, v80
	v_fma_f32 v80, 0x3dbcf732, v29, -v80
	v_add_f32_e32 v58, v81, v58
	v_fmamk_f32 v81, v29, 0x3f6eb680, v84
	v_mul_f32_e32 v30, 0xbf4c4adb, v30
	v_sub_f32_e32 v27, v27, v28
	v_fma_f32 v28, 0x3f6eb680, v29, -v84
	v_add_f32_e32 v59, v80, v59
	v_add_f32_e32 v31, v81, v31
	v_fmamk_f32 v80, v29, 0xbf1a4643, v30
	v_add_f32_e32 v25, v94, v25
	v_mul_f32_e32 v81, 0xbf4c4adb, v27
	v_add_f32_e32 v28, v28, v53
	v_fma_f32 v29, 0xbf1a4643, v29, -v30
	v_mul_f32_e32 v53, 0x3f763a35, v27
	v_add_f32_e32 v30, v80, v60
	v_fmamk_f32 v60, v25, 0xbf1a4643, v81
	v_fma_f32 v80, 0xbf1a4643, v25, -v81
	v_add_f32_e32 v26, v29, v26
	v_mul_f32_e32 v29, 0xbeb8f4ab, v27
	v_fmamk_f32 v81, v25, 0xbe8c1d8e, v53
	v_fma_f32 v53, 0xbe8c1d8e, v25, -v53
	v_add_f32_e32 v83, v87, v83
	v_add_f32_e32 v52, v60, v52
	;; [unrolled: 1-line block ×3, first 2 shown]
	v_fmamk_f32 v60, v25, 0x3f6eb680, v29
	v_mul_f32_e32 v80, 0xbf06c442, v27
	v_fma_f32 v29, 0x3f6eb680, v25, -v29
	v_add_f32_e32 v53, v53, v55
	v_mul_f32_e32 v55, 0x3f7ee86f, v27
	v_add_f32_e32 v77, v77, v83
	v_add_f32_e32 v61, v81, v61
	v_add_f32_e32 v50, v60, v50
	v_fmamk_f32 v60, v25, 0xbf59a7d5, v80
	v_add_f32_e32 v29, v29, v49
	v_fma_f32 v49, 0xbf59a7d5, v25, -v80
	v_mul_f32_e32 v80, 0xbf2c7751, v27
	v_fmamk_f32 v81, v25, 0x3dbcf732, v55
	v_fma_f32 v55, 0x3dbcf732, v25, -v55
	v_add_f32_e32 v57, v82, v57
	v_add_f32_e32 v54, v60, v54
	;; [unrolled: 1-line block ×3, first 2 shown]
	v_fmamk_f32 v56, v25, 0x3f3d2fb0, v80
	v_add_f32_e32 v60, v81, v77
	v_fma_f32 v77, 0x3f3d2fb0, v25, -v80
	v_add_f32_e32 v55, v55, v58
	v_mul_f32_e32 v58, 0xbe3c28d5, v27
	v_mul_f32_e32 v27, 0x3f65296c, v27
	v_sub_f32_e32 v12, v12, v14
	v_add_f32_e32 v56, v56, v57
	v_add_f32_e32 v57, v77, v59
	v_fmamk_f32 v14, v25, 0xbf7ba420, v58
	v_fma_f32 v58, 0xbf7ba420, v25, -v58
	v_fmamk_f32 v59, v25, 0x3ee437d1, v27
	v_add_f32_e32 v13, v13, v15
	v_mul_f32_e32 v15, 0xbf06c442, v12
	v_fma_f32 v25, 0x3ee437d1, v25, -v27
	v_add_f32_e32 v14, v14, v31
	v_add_f32_e32 v27, v58, v28
	;; [unrolled: 1-line block ×3, first 2 shown]
	v_fmamk_f32 v30, v13, 0xbf59a7d5, v15
	v_mul_f32_e32 v31, 0x3f65296c, v12
	v_add_f32_e32 v25, v25, v26
	v_fma_f32 v15, 0xbf59a7d5, v13, -v15
	v_mul_f32_e32 v26, 0xbf7ee86f, v12
	v_add_f32_e32 v30, v30, v52
	v_fmamk_f32 v52, v13, 0x3ee437d1, v31
	v_fma_f32 v31, 0x3ee437d1, v13, -v31
	v_add_f32_e32 v15, v15, v48
	v_fmamk_f32 v48, v13, 0x3dbcf732, v26
	v_mul_f32_e32 v58, 0x3f4c4adb, v12
	v_fma_f32 v26, 0x3dbcf732, v13, -v26
	v_add_f32_e32 v31, v31, v53
	v_mul_f32_e32 v53, 0xbeb8f4ab, v12
	v_add_f32_e32 v48, v48, v50
	v_fmamk_f32 v50, v13, 0xbf1a4643, v58
	v_fma_f32 v58, 0xbf1a4643, v13, -v58
	v_add_f32_e32 v26, v26, v29
	v_mul_f32_e32 v29, 0xbe3c28d5, v12
	v_mul_f32_e32 v59, 0x3f2c7751, v12
	v_add_f32_e32 v50, v50, v54
	v_fmamk_f32 v54, v13, 0x3f6eb680, v53
	v_add_f32_e32 v49, v58, v49
	v_fma_f32 v53, 0x3f6eb680, v13, -v53
	v_fmamk_f32 v58, v13, 0xbf7ba420, v29
	v_mul_f32_e32 v12, 0xbf763a35, v12
	v_sub_f32_e32 v8, v8, v10
	v_fma_f32 v10, 0x3f3d2fb0, v13, -v59
	v_add_f32_e32 v53, v53, v55
	v_add_f32_e32 v55, v58, v56
	v_fmamk_f32 v56, v13, 0x3f3d2fb0, v59
	v_add_f32_e32 v9, v9, v11
	v_mul_f32_e32 v11, 0xbe3c28d5, v8
	v_fma_f32 v29, 0xbf7ba420, v13, -v29
	v_add_f32_e32 v10, v10, v27
	v_add_f32_e32 v14, v56, v14
	v_fmamk_f32 v56, v13, 0xbe8c1d8e, v12
	v_fma_f32 v12, 0xbe8c1d8e, v13, -v12
	v_mul_f32_e32 v27, 0x3eb8f4ab, v8
	v_add_f32_e32 v52, v52, v61
	v_add_f32_e32 v29, v29, v57
	;; [unrolled: 1-line block ×3, first 2 shown]
	v_fmamk_f32 v28, v9, 0xbf7ba420, v11
	v_fma_f32 v11, 0xbf7ba420, v9, -v11
	v_add_f32_e32 v12, v12, v25
	v_mul_f32_e32 v56, 0xbf06c442, v8
	v_fmamk_f32 v57, v9, 0x3f6eb680, v27
	v_add_f32_e32 v28, v28, v30
	v_add_f32_e32 v25, v11, v15
	v_fma_f32 v11, 0x3f6eb680, v9, -v27
	v_fmamk_f32 v15, v9, 0xbf59a7d5, v56
	v_mul_f32_e32 v30, 0x3f2c7751, v8
	v_add_f32_e32 v27, v57, v52
	v_fma_f32 v52, 0xbf59a7d5, v9, -v56
	v_add_f32_e32 v11, v11, v31
	v_mul_f32_e32 v31, 0xbf4c4adb, v8
	v_add_f32_e32 v51, v51, v105
	v_add_f32_e32 v54, v54, v60
	;; [unrolled: 1-line block ×3, first 2 shown]
	v_fmamk_f32 v48, v9, 0x3f3d2fb0, v30
	v_fmamk_f32 v56, v9, 0xbf1a4643, v31
	v_add_f32_e32 v26, v52, v26
	v_fma_f32 v30, 0x3f3d2fb0, v9, -v30
	v_mul_f32_e32 v52, 0x3f65296c, v8
	v_add_f32_e32 v51, v51, v107
	v_add_f32_e32 v48, v48, v50
	v_fma_f32 v31, 0xbf1a4643, v9, -v31
	v_add_f32_e32 v50, v56, v54
	v_mul_f32_e32 v54, 0xbf763a35, v8
	v_add_f32_e32 v30, v30, v49
	v_fmamk_f32 v49, v9, 0x3ee437d1, v52
	v_mul_f32_e32 v8, 0x3f7ee86f, v8
	v_add_f32_e32 v51, v51, v110
	v_add_f32_e32 v31, v31, v53
	v_fmamk_f32 v53, v9, 0xbe8c1d8e, v54
	v_add_f32_e32 v49, v49, v55
	v_fmamk_f32 v55, v9, 0x3dbcf732, v8
	v_fma_f32 v8, 0x3dbcf732, v9, -v8
	v_add_f32_e32 v51, v51, v109
	v_fma_f32 v52, 0x3ee437d1, v9, -v52
	v_fma_f32 v54, 0xbe8c1d8e, v9, -v54
	v_add_f32_e32 v14, v53, v14
	v_add_f32_e32 v13, v55, v13
	;; [unrolled: 1-line block ×5, first 2 shown]
	s_waitcnt lgkmcnt(0)
	s_barrier
	buffer_gl0_inv
	ds_write2_b32 v46, v51, v28 offset1:34
	ds_write2_b32 v46, v27, v15 offset0:68 offset1:102
	ds_write2_b32 v46, v48, v50 offset0:136 offset1:170
	;; [unrolled: 1-line block ×7, first 2 shown]
	ds_write_b32 v46, v25 offset:2176
	v_add_nc_u32_e32 v8, 0x800, v42
	v_add_nc_u32_e32 v10, 0xa00, v42
	;; [unrolled: 1-line block ×4, first 2 shown]
	s_waitcnt lgkmcnt(0)
	s_barrier
	buffer_gl0_inv
	ds_read2_b32 v[8:9], v8 offset0:66 offset1:134
	ds_read2_b32 v[10:11], v10 offset0:74 offset1:142
	;; [unrolled: 1-line block ×4, first 2 shown]
	ds_read_b32 v28, v69
	ds_read_b32 v27, v70
	;; [unrolled: 1-line block ×8, first 2 shown]
	s_and_saveexec_b32 s1, s0
	s_cbranch_execz .LBB0_24
; %bb.23:
	ds_read_b32 v25, v44
	ds_read_b32 v79, v42 offset:4488
	v_mov_b32_e32 v45, v34
.LBB0_24:
	s_or_b32 exec_lo, exec_lo, s1
	s_and_saveexec_b32 s1, vcc_lo
	s_cbranch_execz .LBB0_27
; %bb.25:
	v_mov_b32_e32 v34, 0
	v_mad_u64_u32 v[58:59], null, s2, v32, 0
	v_mad_u64_u32 v[60:61], null, s2, v64, 0
	v_mov_b32_e32 v44, v34
	v_lshlrev_b64 v[48:49], 3, v[33:34]
	v_mov_b32_e32 v42, v34
	v_add_nc_u32_e32 v96, 0x242, v32
	v_mad_u64_u32 v[69:70], null, s2, v68, 0
	v_lshlrev_b64 v[43:44], 3, v[43:44]
	v_add_co_u32 v33, vcc_lo, s8, v48
	v_lshlrev_b64 v[50:51], 3, v[41:42]
	v_add_co_ci_u32_e32 v41, vcc_lo, s9, v49, vcc_lo
	v_add_co_u32 v48, vcc_lo, s8, v43
	v_add_co_ci_u32_e32 v44, vcc_lo, s9, v44, vcc_lo
	v_add_co_u32 v42, vcc_lo, 0x1000, v33
	;; [unrolled: 2-line block ×3, first 2 shown]
	v_mov_b32_e32 v41, v34
	v_add_co_ci_u32_e32 v49, vcc_lo, 0, v44, vcc_lo
	v_add_co_u32 v33, vcc_lo, s8, v50
	v_add_co_ci_u32_e32 v44, vcc_lo, s9, v51, vcc_lo
	v_lshlrev_b64 v[50:51], 3, v[40:41]
	v_add_co_u32 v52, vcc_lo, 0x1000, v33
	v_mov_b32_e32 v40, v34
	v_add_co_ci_u32_e32 v53, vcc_lo, 0, v44, vcc_lo
	v_add_co_u32 v33, vcc_lo, s8, v50
	v_add_co_ci_u32_e32 v41, vcc_lo, s9, v51, vcc_lo
	v_lshlrev_b64 v[39:40], 3, v[39:40]
	v_add_co_u32 v50, vcc_lo, 0x1000, v33
	v_add_co_ci_u32_e32 v51, vcc_lo, 0, v41, vcc_lo
	v_add_nc_u32_e32 v98, 0x2ca, v32
	v_add_co_u32 v33, vcc_lo, s8, v39
	v_mov_b32_e32 v39, v34
	v_add_co_ci_u32_e32 v41, vcc_lo, s9, v40, vcc_lo
	v_add_co_u32 v40, vcc_lo, 0x1000, v33
	v_lshlrev_b64 v[54:55], 3, v[38:39]
	v_mov_b32_e32 v38, v34
	v_add_co_ci_u32_e32 v41, vcc_lo, 0, v41, vcc_lo
	s_clause 0x4
	global_load_dwordx2 v[42:43], v[42:43], off offset:392
	global_load_dwordx2 v[48:49], v[48:49], off offset:392
	;; [unrolled: 1-line block ×5, first 2 shown]
	v_mov_b32_e32 v33, v34
	v_add_co_u32 v41, vcc_lo, s8, v54
	v_add_co_ci_u32_e32 v44, vcc_lo, s9, v55, vcc_lo
	v_lshlrev_b64 v[37:38], 3, v[37:38]
	v_add_co_u32 v54, vcc_lo, 0x1000, v41
	v_lshlrev_b64 v[56:57], 3, v[32:33]
	v_add_co_ci_u32_e32 v55, vcc_lo, 0, v44, vcc_lo
	v_add_co_u32 v33, vcc_lo, s8, v37
	v_add_co_ci_u32_e32 v38, vcc_lo, s9, v38, vcc_lo
	v_add_co_u32 v41, vcc_lo, s8, v56
	;; [unrolled: 2-line block ×4, first 2 shown]
	v_add_co_ci_u32_e32 v57, vcc_lo, 0, v44, vcc_lo
	s_clause 0x2
	global_load_dwordx2 v[54:55], v[54:55], off offset:392
	global_load_dwordx2 v[37:38], v[37:38], off offset:392
	;; [unrolled: 1-line block ×3, first 2 shown]
	v_add_nc_u32_e32 v97, 0x286, v32
	v_mad_u64_u32 v[71:72], null, s2, v66, 0
	v_add_nc_u32_e32 v99, 0x30e, v32
	v_mad_u64_u32 v[73:74], null, s2, v65, 0
	v_mad_u64_u32 v[75:76], null, s2, v63, 0
	v_mul_hi_u32 v77, 0xe2c4a689, v62
	v_add_co_u32 v33, vcc_lo, s12, v35
	v_add_nc_u32_e32 v100, 0x352, v32
	v_mul_hi_u32 v92, 0xe2c4a689, v67
	v_mad_u64_u32 v[80:81], null, s2, v96, 0
	v_mad_u64_u32 v[84:85], null, s2, v98, 0
	v_add_co_ci_u32_e32 v35, vcc_lo, s13, v36, vcc_lo
	v_mad_u64_u32 v[82:83], null, s2, v97, 0
	v_mad_u64_u32 v[86:87], null, s2, v99, 0
	v_mov_b32_e32 v36, v59
	v_mov_b32_e32 v41, v61
	;; [unrolled: 1-line block ×3, first 2 shown]
	v_mad_u64_u32 v[88:89], null, s2, v100, 0
	v_mov_b32_e32 v59, v72
	v_mov_b32_e32 v61, v74
	;; [unrolled: 1-line block ×3, first 2 shown]
	v_lshrrev_b32_e32 v72, 9, v77
	v_lshrrev_b32_e32 v74, 9, v92
	v_add_nc_u32_e32 v101, 0x396, v32
	v_mad_u32_u24 v102, 0x242, v74, v67
	v_mad_u64_u32 v[90:91], null, s2, v101, 0
	v_add_nc_u32_e32 v103, 0x242, v102
	s_waitcnt vmcnt(7)
	v_mad_u64_u32 v[92:93], null, s3, v64, v[41:42]
	v_mad_u64_u32 v[93:94], null, s3, v68, v[44:45]
	v_mov_b32_e32 v44, v85
	v_mov_b32_e32 v41, v83
	v_mad_u64_u32 v[94:95], null, s3, v66, v[59:60]
	v_mov_b32_e32 v59, v87
	v_mad_u64_u32 v[64:65], null, s3, v65, v[61:62]
	;; [unrolled: 2-line block ×3, first 2 shown]
	v_mov_b32_e32 v70, v93
	v_mov_b32_e32 v63, v91
	;; [unrolled: 1-line block ×3, first 2 shown]
	s_waitcnt vmcnt(1)
	v_mad_u64_u32 v[76:77], null, s3, v32, v[36:37]
	v_mov_b32_e32 v36, v81
	v_mad_u32_u24 v77, 0x242, v72, v62
	v_mov_b32_e32 v72, v94
	v_mad_u64_u32 v[66:67], null, s3, v96, v[36:37]
	v_mad_u64_u32 v[95:96], null, s3, v98, v[44:45]
	;; [unrolled: 1-line block ×4, first 2 shown]
	v_mov_b32_e32 v59, v76
	v_mad_u64_u32 v[97:98], null, s3, v100, v[61:62]
	v_mov_b32_e32 v61, v92
	v_mov_b32_e32 v76, v65
	v_lshlrev_b64 v[58:59], 3, v[58:59]
	v_mov_b32_e32 v81, v66
	v_lshlrev_b64 v[65:66], 3, v[69:70]
	v_lshlrev_b64 v[60:61], 3, v[60:61]
	v_mov_b32_e32 v83, v67
	v_lshlrev_b64 v[67:68], 3, v[71:72]
	v_add_co_u32 v58, vcc_lo, v33, v58
	v_add_co_ci_u32_e32 v59, vcc_lo, v35, v59, vcc_lo
	v_add_co_u32 v60, vcc_lo, v33, v60
	v_mad_u64_u32 v[98:99], null, s2, v77, 0
	v_add_nc_u32_e32 v44, 0x242, v77
	v_add_co_ci_u32_e32 v61, vcc_lo, v35, v61, vcc_lo
	v_lshlrev_b64 v[69:70], 3, v[73:74]
	v_add_co_u32 v65, vcc_lo, v33, v65
	v_mad_u64_u32 v[62:63], null, s3, v101, v[63:64]
	v_mad_u64_u32 v[100:101], null, s2, v102, 0
	v_add_co_ci_u32_e32 v66, vcc_lo, v35, v66, vcc_lo
	v_lshlrev_b64 v[71:72], 3, v[75:76]
	v_add_co_u32 v67, vcc_lo, v33, v67
	v_mad_u64_u32 v[63:64], null, s2, v44, 0
	v_add_co_ci_u32_e32 v68, vcc_lo, v35, v68, vcc_lo
	v_mov_b32_e32 v85, v95
	v_mov_b32_e32 v89, v97
	;; [unrolled: 1-line block ×3, first 2 shown]
	v_lshlrev_b64 v[73:74], 3, v[80:81]
	v_add_co_u32 v69, vcc_lo, v33, v69
	v_add_co_ci_u32_e32 v70, vcc_lo, v35, v70, vcc_lo
	v_mov_b32_e32 v87, v96
	v_mov_b32_e32 v91, v62
	;; [unrolled: 1-line block ×3, first 2 shown]
	v_lshlrev_b64 v[75:76], 3, v[82:83]
	v_add_co_u32 v71, vcc_lo, v33, v71
	v_lshlrev_b64 v[80:81], 3, v[84:85]
	v_lshlrev_b64 v[84:85], 3, v[88:89]
	v_mad_u64_u32 v[88:89], null, s3, v77, v[36:37]
	v_add_co_ci_u32_e32 v72, vcc_lo, v35, v72, vcc_lo
	v_mad_u64_u32 v[92:93], null, s2, v103, 0
	v_mov_b32_e32 v36, v64
	v_add_co_u32 v73, vcc_lo, v33, v73
	v_lshlrev_b64 v[82:83], 3, v[86:87]
	v_lshlrev_b64 v[86:87], 3, v[90:91]
	v_mad_u64_u32 v[89:90], null, s3, v102, v[41:42]
	v_add_co_ci_u32_e32 v74, vcc_lo, v35, v74, vcc_lo
	v_add_co_u32 v75, vcc_lo, v33, v75
	v_mad_u64_u32 v[90:91], null, s3, v44, v[36:37]
	v_add_co_ci_u32_e32 v76, vcc_lo, v35, v76, vcc_lo
	v_add_co_u32 v80, vcc_lo, v33, v80
	v_mov_b32_e32 v99, v88
	v_mov_b32_e32 v41, v93
	v_add_co_ci_u32_e32 v81, vcc_lo, v35, v81, vcc_lo
	v_add_co_u32 v82, vcc_lo, v33, v82
	v_mov_b32_e32 v101, v89
	v_add_co_ci_u32_e32 v83, vcc_lo, v35, v83, vcc_lo
	v_add_co_u32 v84, vcc_lo, v33, v84
	v_lshlrev_b64 v[88:89], 3, v[98:99]
	v_mad_u64_u32 v[93:94], null, s3, v103, v[41:42]
	v_mov_b32_e32 v64, v90
	v_add_co_ci_u32_e32 v85, vcc_lo, v35, v85, vcc_lo
	v_add_co_u32 v86, vcc_lo, v33, v86
	v_lshlrev_b64 v[90:91], 3, v[100:101]
	v_add_co_ci_u32_e32 v87, vcc_lo, v35, v87, vcc_lo
	v_lshlrev_b64 v[62:63], 3, v[63:64]
	v_add_co_u32 v88, vcc_lo, v33, v88
	v_add_co_ci_u32_e32 v89, vcc_lo, v35, v89, vcc_lo
	v_lshlrev_b64 v[92:93], 3, v[92:93]
	v_add_co_u32 v90, vcc_lo, v33, v90
	v_mul_f32_e32 v36, v7, v43
	s_waitcnt lgkmcnt(8)
	v_mul_f32_e32 v41, v15, v43
	v_add_co_ci_u32_e32 v91, vcc_lo, v35, v91, vcc_lo
	v_add_co_u32 v62, vcc_lo, v33, v62
	v_add_co_ci_u32_e32 v63, vcc_lo, v35, v63, vcc_lo
	v_add_co_u32 v43, vcc_lo, v33, v92
	v_fmac_f32_e32 v36, v15, v42
	v_fma_f32 v7, v7, v42, -v41
	v_mul_f32_e32 v15, v6, v49
	v_mul_f32_e32 v42, v14, v49
	;; [unrolled: 1-line block ×10, first 2 shown]
	s_waitcnt vmcnt(0)
	v_mul_f32_e32 v95, v0, v57
	v_mul_f32_e32 v57, v8, v57
	v_add_co_ci_u32_e32 v44, vcc_lo, v35, v93, vcc_lo
	v_mul_f32_e32 v93, v2, v55
	v_mul_f32_e32 v55, v10, v55
	s_waitcnt lgkmcnt(0)
	v_sub_f32_e32 v41, v47, v36
	v_sub_f32_e32 v40, v24, v7
	v_fmac_f32_e32 v15, v14, v48
	v_fma_f32 v6, v6, v48, -v42
	v_fma_f32 v7, v5, v52, -v53
	v_fmac_f32_e32 v64, v12, v50
	v_fma_f32 v12, v4, v50, -v51
	v_fmac_f32_e32 v77, v11, v39
	v_fma_f32 v11, v3, v39, -v92
	v_fma_f32 v14, v1, v37, -v38
	v_fmac_f32_e32 v95, v8, v56
	v_fma_f32 v36, v0, v56, -v57
	v_fmac_f32_e32 v94, v9, v37
	v_fmac_f32_e32 v93, v10, v54
	v_fma_f32 v10, v2, v54, -v55
	v_fmac_f32_e32 v49, v13, v52
	v_sub_f32_e32 v3, v46, v15
	v_sub_f32_e32 v2, v23, v6
	;; [unrolled: 1-line block ×14, first 2 shown]
	v_fma_f32 v36, v22, 2.0, -v4
	v_fma_f32 v22, v30, 2.0, -v7
	;; [unrolled: 1-line block ×16, first 2 shown]
	global_store_dwordx2 v[58:59], v[19:20], off
	global_store_dwordx2 v[73:74], v[14:15], off
	;; [unrolled: 1-line block ×16, first 2 shown]
	s_and_b32 exec_lo, exec_lo, s0
	s_cbranch_execz .LBB0_27
; %bb.26:
	v_mov_b32_e32 v46, v34
	v_add_nc_u32_e32 v6, 0x220, v32
	v_add_nc_u32_e32 v8, 0x462, v32
	v_lshlrev_b64 v[0:1], 3, v[45:46]
	v_mad_u64_u32 v[2:3], null, s2, v6, 0
	v_mad_u64_u32 v[4:5], null, s2, v8, 0
	v_add_co_u32 v0, vcc_lo, s8, v0
	v_add_co_ci_u32_e32 v1, vcc_lo, s9, v1, vcc_lo
	v_mad_u64_u32 v[6:7], null, s3, v6, v[3:4]
	v_add_co_u32 v0, vcc_lo, 0x1000, v0
	v_add_co_ci_u32_e32 v1, vcc_lo, 0, v1, vcc_lo
	v_mad_u64_u32 v[7:8], null, s3, v8, v[5:6]
	global_load_dwordx2 v[0:1], v[0:1], off offset:392
	v_mov_b32_e32 v3, v6
	v_mov_b32_e32 v5, v7
	s_waitcnt vmcnt(0)
	v_mul_f32_e32 v8, v79, v1
	v_mul_f32_e32 v9, v78, v1
	v_fma_f32 v6, v78, v0, -v8
	v_fmac_f32_e32 v9, v79, v0
	v_lshlrev_b64 v[0:1], 3, v[2:3]
	v_lshlrev_b64 v[2:3], 3, v[4:5]
	v_sub_f32_e32 v4, v16, v6
	v_sub_f32_e32 v5, v25, v9
	v_add_co_u32 v0, vcc_lo, v33, v0
	v_add_co_ci_u32_e32 v1, vcc_lo, v35, v1, vcc_lo
	v_add_co_u32 v2, vcc_lo, v33, v2
	v_fma_f32 v6, v16, 2.0, -v4
	v_fma_f32 v7, v25, 2.0, -v5
	v_add_co_ci_u32_e32 v3, vcc_lo, v35, v3, vcc_lo
	global_store_dwordx2 v[0:1], v[6:7], off
	global_store_dwordx2 v[2:3], v[4:5], off
.LBB0_27:
	s_endpgm
	.section	.rodata,"a",@progbits
	.p2align	6, 0x0
	.amdhsa_kernel fft_rtc_fwd_len1156_factors_17_2_17_2_wgs_204_tpt_68_halfLds_sp_ip_CI_sbrr_dirReg
		.amdhsa_group_segment_fixed_size 0
		.amdhsa_private_segment_fixed_size 0
		.amdhsa_kernarg_size 88
		.amdhsa_user_sgpr_count 6
		.amdhsa_user_sgpr_private_segment_buffer 1
		.amdhsa_user_sgpr_dispatch_ptr 0
		.amdhsa_user_sgpr_queue_ptr 0
		.amdhsa_user_sgpr_kernarg_segment_ptr 1
		.amdhsa_user_sgpr_dispatch_id 0
		.amdhsa_user_sgpr_flat_scratch_init 0
		.amdhsa_user_sgpr_private_segment_size 0
		.amdhsa_wavefront_size32 1
		.amdhsa_uses_dynamic_stack 0
		.amdhsa_system_sgpr_private_segment_wavefront_offset 0
		.amdhsa_system_sgpr_workgroup_id_x 1
		.amdhsa_system_sgpr_workgroup_id_y 0
		.amdhsa_system_sgpr_workgroup_id_z 0
		.amdhsa_system_sgpr_workgroup_info 0
		.amdhsa_system_vgpr_workitem_id 0
		.amdhsa_next_free_vgpr 198
		.amdhsa_next_free_sgpr 23
		.amdhsa_reserve_vcc 1
		.amdhsa_reserve_flat_scratch 0
		.amdhsa_float_round_mode_32 0
		.amdhsa_float_round_mode_16_64 0
		.amdhsa_float_denorm_mode_32 3
		.amdhsa_float_denorm_mode_16_64 3
		.amdhsa_dx10_clamp 1
		.amdhsa_ieee_mode 1
		.amdhsa_fp16_overflow 0
		.amdhsa_workgroup_processor_mode 1
		.amdhsa_memory_ordered 1
		.amdhsa_forward_progress 0
		.amdhsa_shared_vgpr_count 0
		.amdhsa_exception_fp_ieee_invalid_op 0
		.amdhsa_exception_fp_denorm_src 0
		.amdhsa_exception_fp_ieee_div_zero 0
		.amdhsa_exception_fp_ieee_overflow 0
		.amdhsa_exception_fp_ieee_underflow 0
		.amdhsa_exception_fp_ieee_inexact 0
		.amdhsa_exception_int_div_zero 0
	.end_amdhsa_kernel
	.text
.Lfunc_end0:
	.size	fft_rtc_fwd_len1156_factors_17_2_17_2_wgs_204_tpt_68_halfLds_sp_ip_CI_sbrr_dirReg, .Lfunc_end0-fft_rtc_fwd_len1156_factors_17_2_17_2_wgs_204_tpt_68_halfLds_sp_ip_CI_sbrr_dirReg
                                        ; -- End function
	.section	.AMDGPU.csdata,"",@progbits
; Kernel info:
; codeLenInByte = 17056
; NumSgprs: 25
; NumVgprs: 198
; ScratchSize: 0
; MemoryBound: 0
; FloatMode: 240
; IeeeMode: 1
; LDSByteSize: 0 bytes/workgroup (compile time only)
; SGPRBlocks: 3
; VGPRBlocks: 24
; NumSGPRsForWavesPerEU: 25
; NumVGPRsForWavesPerEU: 198
; Occupancy: 4
; WaveLimiterHint : 1
; COMPUTE_PGM_RSRC2:SCRATCH_EN: 0
; COMPUTE_PGM_RSRC2:USER_SGPR: 6
; COMPUTE_PGM_RSRC2:TRAP_HANDLER: 0
; COMPUTE_PGM_RSRC2:TGID_X_EN: 1
; COMPUTE_PGM_RSRC2:TGID_Y_EN: 0
; COMPUTE_PGM_RSRC2:TGID_Z_EN: 0
; COMPUTE_PGM_RSRC2:TIDIG_COMP_CNT: 0
	.text
	.p2alignl 6, 3214868480
	.fill 48, 4, 3214868480
	.type	__hip_cuid_99794af6b2c839f5,@object ; @__hip_cuid_99794af6b2c839f5
	.section	.bss,"aw",@nobits
	.globl	__hip_cuid_99794af6b2c839f5
__hip_cuid_99794af6b2c839f5:
	.byte	0                               ; 0x0
	.size	__hip_cuid_99794af6b2c839f5, 1

	.ident	"AMD clang version 19.0.0git (https://github.com/RadeonOpenCompute/llvm-project roc-6.4.0 25133 c7fe45cf4b819c5991fe208aaa96edf142730f1d)"
	.section	".note.GNU-stack","",@progbits
	.addrsig
	.addrsig_sym __hip_cuid_99794af6b2c839f5
	.amdgpu_metadata
---
amdhsa.kernels:
  - .args:
      - .actual_access:  read_only
        .address_space:  global
        .offset:         0
        .size:           8
        .value_kind:     global_buffer
      - .offset:         8
        .size:           8
        .value_kind:     by_value
      - .actual_access:  read_only
        .address_space:  global
        .offset:         16
        .size:           8
        .value_kind:     global_buffer
      - .actual_access:  read_only
        .address_space:  global
        .offset:         24
        .size:           8
        .value_kind:     global_buffer
      - .offset:         32
        .size:           8
        .value_kind:     by_value
      - .actual_access:  read_only
        .address_space:  global
        .offset:         40
        .size:           8
        .value_kind:     global_buffer
      - .actual_access:  read_only
        .address_space:  global
        .offset:         48
        .size:           8
        .value_kind:     global_buffer
      - .offset:         56
        .size:           4
        .value_kind:     by_value
      - .actual_access:  read_only
        .address_space:  global
        .offset:         64
        .size:           8
        .value_kind:     global_buffer
      - .actual_access:  read_only
        .address_space:  global
        .offset:         72
        .size:           8
        .value_kind:     global_buffer
      - .address_space:  global
        .offset:         80
        .size:           8
        .value_kind:     global_buffer
    .group_segment_fixed_size: 0
    .kernarg_segment_align: 8
    .kernarg_segment_size: 88
    .language:       OpenCL C
    .language_version:
      - 2
      - 0
    .max_flat_workgroup_size: 204
    .name:           fft_rtc_fwd_len1156_factors_17_2_17_2_wgs_204_tpt_68_halfLds_sp_ip_CI_sbrr_dirReg
    .private_segment_fixed_size: 0
    .sgpr_count:     25
    .sgpr_spill_count: 0
    .symbol:         fft_rtc_fwd_len1156_factors_17_2_17_2_wgs_204_tpt_68_halfLds_sp_ip_CI_sbrr_dirReg.kd
    .uniform_work_group_size: 1
    .uses_dynamic_stack: false
    .vgpr_count:     198
    .vgpr_spill_count: 0
    .wavefront_size: 32
    .workgroup_processor_mode: 1
amdhsa.target:   amdgcn-amd-amdhsa--gfx1030
amdhsa.version:
  - 1
  - 2
...

	.end_amdgpu_metadata
